;; amdgpu-corpus repo=ROCm/rocFFT kind=compiled arch=gfx1201 opt=O3
	.text
	.amdgcn_target "amdgcn-amd-amdhsa--gfx1201"
	.amdhsa_code_object_version 6
	.protected	bluestein_single_fwd_len1820_dim1_dp_op_CI_CI ; -- Begin function bluestein_single_fwd_len1820_dim1_dp_op_CI_CI
	.globl	bluestein_single_fwd_len1820_dim1_dp_op_CI_CI
	.p2align	8
	.type	bluestein_single_fwd_len1820_dim1_dp_op_CI_CI,@function
bluestein_single_fwd_len1820_dim1_dp_op_CI_CI: ; @bluestein_single_fwd_len1820_dim1_dp_op_CI_CI
; %bb.0:
	s_load_b128 s[16:19], s[0:1], 0x28
	v_mul_u32_u24_e32 v1, 0x169, v0
	s_mov_b32 s2, exec_lo
	v_mov_b32_e32 v6, 0
	s_delay_alu instid0(VALU_DEP_2) | instskip(NEXT) | instid1(VALU_DEP_1)
	v_lshrrev_b32_e32 v1, 16, v1
	v_add_nc_u32_e32 v5, ttmp9, v1
	s_wait_kmcnt 0x0
	s_delay_alu instid0(VALU_DEP_1)
	v_cmpx_gt_u64_e64 s[16:17], v[5:6]
	s_cbranch_execz .LBB0_18
; %bb.1:
	s_clause 0x1
	s_load_b128 s[4:7], s[0:1], 0x18
	s_load_b128 s[8:11], s[0:1], 0x0
	v_mul_lo_u16 v1, 0xb6, v1
	s_mov_b32 s16, 0x4755a5e
	s_mov_b32 s17, 0x3fe2cf23
	;; [unrolled: 1-line block ×4, first 2 shown]
	v_sub_nc_u16 v0, v0, v1
	s_delay_alu instid0(VALU_DEP_1) | instskip(NEXT) | instid1(VALU_DEP_1)
	v_and_b32_e32 v8, 0xffff, v0
	v_dual_mov_b32 v6, v5 :: v_dual_lshlrev_b32 v255, 4, v8
	s_clause 0x1
	scratch_store_b64 off, v[6:7], off offset:20
	scratch_store_b32 off, v8, off
	s_wait_kmcnt 0x0
	s_load_b128 s[12:15], s[4:5], 0x0
	s_clause 0x7
	global_load_b128 v[81:84], v255, s[8:9]
	global_load_b128 v[85:88], v255, s[8:9] offset:2912
	global_load_b128 v[89:92], v255, s[8:9] offset:5824
	;; [unrolled: 1-line block ×7, first 2 shown]
	s_wait_kmcnt 0x0
	v_mad_co_u64_u32 v[1:2], null, s14, v5, 0
	v_mad_co_u64_u32 v[3:4], null, s12, v8, 0
	s_mul_u64 s[2:3], s[12:13], 0xb60
	s_mov_b32 s14, s16
	s_delay_alu instid0(VALU_DEP_1) | instskip(SKIP_1) | instid1(VALU_DEP_1)
	v_mad_co_u64_u32 v[5:6], null, s15, v5, v[2:3]
	s_mov_b32 s15, 0xbfe2cf23
	v_mad_co_u64_u32 v[6:7], null, s13, v8, v[4:5]
	v_mov_b32_e32 v2, v5
	s_mov_b32 s12, 0x134454ff
	s_mov_b32 s13, 0x3fee6f0e
	s_delay_alu instid0(VALU_DEP_1) | instskip(NEXT) | instid1(VALU_DEP_3)
	v_lshlrev_b64_e32 v[1:2], 4, v[1:2]
	v_mov_b32_e32 v4, v6
	s_delay_alu instid0(VALU_DEP_2) | instskip(NEXT) | instid1(VALU_DEP_2)
	v_add_co_u32 v1, vcc_lo, s18, v1
	v_lshlrev_b64_e32 v[3:4], 4, v[3:4]
	s_delay_alu instid0(VALU_DEP_4) | instskip(SKIP_2) | instid1(VALU_DEP_2)
	v_add_co_ci_u32_e32 v2, vcc_lo, s19, v2, vcc_lo
	s_mov_b32 s18, 0x372fe950
	s_mov_b32 s19, 0x3fd3c6ef
	v_add_co_u32 v1, vcc_lo, v1, v3
	s_wait_alu 0xfffd
	v_add_co_ci_u32_e32 v2, vcc_lo, v2, v4, vcc_lo
	s_delay_alu instid0(VALU_DEP_2) | instskip(SKIP_1) | instid1(VALU_DEP_2)
	v_add_co_u32 v5, vcc_lo, v1, s2
	s_wait_alu 0xfffd
	v_add_co_ci_u32_e32 v6, vcc_lo, s3, v2, vcc_lo
	s_delay_alu instid0(VALU_DEP_2) | instskip(SKIP_1) | instid1(VALU_DEP_2)
	v_add_co_u32 v9, vcc_lo, v5, s2
	s_wait_alu 0xfffd
	v_add_co_ci_u32_e32 v10, vcc_lo, s3, v6, vcc_lo
	s_clause 0x1
	global_load_b128 v[1:4], v[1:2], off
	global_load_b128 v[5:8], v[5:6], off
	v_add_co_u32 v13, vcc_lo, v9, s2
	s_wait_alu 0xfffd
	v_add_co_ci_u32_e32 v14, vcc_lo, s3, v10, vcc_lo
	s_delay_alu instid0(VALU_DEP_2) | instskip(SKIP_1) | instid1(VALU_DEP_2)
	v_add_co_u32 v17, vcc_lo, v13, s2
	s_wait_alu 0xfffd
	v_add_co_ci_u32_e32 v18, vcc_lo, s3, v14, vcc_lo
	s_clause 0x1
	global_load_b128 v[9:12], v[9:10], off
	global_load_b128 v[13:16], v[13:14], off
	v_add_co_u32 v21, vcc_lo, v17, s2
	s_wait_alu 0xfffd
	v_add_co_ci_u32_e32 v22, vcc_lo, s3, v18, vcc_lo
	global_load_b128 v[17:20], v[17:18], off
	v_add_co_u32 v25, vcc_lo, v21, s2
	s_wait_alu 0xfffd
	v_add_co_ci_u32_e32 v26, vcc_lo, s3, v22, vcc_lo
	;; [unrolled: 4-line block ×4, first 2 shown]
	s_delay_alu instid0(VALU_DEP_2) | instskip(SKIP_1) | instid1(VALU_DEP_2)
	v_add_co_u32 v37, vcc_lo, v33, s2
	s_wait_alu 0xfffd
	v_add_co_ci_u32_e32 v38, vcc_lo, s3, v34, vcc_lo
	global_load_b128 v[29:32], v[29:30], off
	global_load_b128 v[33:36], v[33:34], off
	s_clause 0x1
	global_load_b128 v[113:116], v255, s[8:9] offset:23296
	global_load_b128 v[117:120], v255, s[8:9] offset:26208
	global_load_b128 v[37:40], v[37:38], off
	s_load_b128 s[4:7], s[6:7], 0x0
	s_mov_b32 s3, 0xbfee6f0e
	s_mov_b32 s2, s12
	v_cmp_gt_u16_e32 vcc_lo, 0x8c, v0
	s_wait_loadcnt 0x13
	scratch_store_b128 off, v[81:84], off offset:28 ; 16-byte Folded Spill
	s_wait_loadcnt 0x12
	scratch_store_b128 off, v[85:88], off offset:44 ; 16-byte Folded Spill
	;; [unrolled: 2-line block ×8, first 2 shown]
	s_wait_loadcnt 0xb
	v_mul_f64_e32 v[41:42], v[3:4], v[83:84]
	v_mul_f64_e32 v[43:44], v[1:2], v[83:84]
	s_wait_loadcnt 0xa
	v_mul_f64_e32 v[45:46], v[7:8], v[87:88]
	v_mul_f64_e32 v[47:48], v[5:6], v[87:88]
	;; [unrolled: 3-line block ×10, first 2 shown]
	v_fma_f64 v[1:2], v[1:2], v[81:82], v[41:42]
	v_fma_f64 v[3:4], v[3:4], v[81:82], -v[43:44]
	v_fma_f64 v[5:6], v[5:6], v[85:86], v[45:46]
	v_fma_f64 v[7:8], v[7:8], v[85:86], -v[47:48]
	s_clause 0x1
	scratch_store_b128 off, v[113:116], off offset:156
	scratch_store_b128 off, v[117:120], off offset:172
	v_fma_f64 v[9:10], v[9:10], v[89:90], v[49:50]
	v_fma_f64 v[11:12], v[11:12], v[89:90], -v[51:52]
	v_fma_f64 v[13:14], v[13:14], v[93:94], v[53:54]
	v_fma_f64 v[15:16], v[15:16], v[93:94], -v[55:56]
	;; [unrolled: 2-line block ×8, first 2 shown]
	ds_store_b128 v255, v[1:4]
	ds_store_b128 v255, v[5:8] offset:2912
	ds_store_b128 v255, v[9:12] offset:5824
	;; [unrolled: 1-line block ×9, first 2 shown]
	global_wb scope:SCOPE_SE
	s_wait_storecnt_dscnt 0x0
	s_wait_kmcnt 0x0
	s_barrier_signal -1
	s_barrier_wait -1
	global_inv scope:SCOPE_SE
	ds_load_b128 v[1:4], v255 offset:8736
	ds_load_b128 v[5:8], v255 offset:14560
	;; [unrolled: 1-line block ×5, first 2 shown]
	s_wait_dscnt 0x3
	v_add_f64_e64 v[65:66], v[1:2], -v[5:6]
	s_wait_dscnt 0x2
	v_add_f64_e32 v[21:22], v[5:6], v[9:10]
	s_wait_dscnt 0x1
	v_add_f64_e32 v[23:24], v[3:4], v[15:16]
	v_add_f64_e32 v[25:26], v[1:2], v[13:14]
	;; [unrolled: 1-line block ×3, first 2 shown]
	v_add_f64_e64 v[41:42], v[3:4], -v[15:16]
	v_add_f64_e64 v[43:44], v[7:8], -v[11:12]
	;; [unrolled: 1-line block ×11, first 2 shown]
	s_wait_dscnt 0x0
	v_add_f64_e32 v[1:2], v[17:18], v[1:2]
	v_add_f64_e32 v[3:4], v[19:20], v[3:4]
	v_fma_f64 v[47:48], v[21:22], -0.5, v[17:18]
	v_fma_f64 v[49:50], v[23:24], -0.5, v[19:20]
	;; [unrolled: 1-line block ×4, first 2 shown]
	ds_load_b128 v[21:24], v255 offset:5824
	ds_load_b128 v[25:28], v255 offset:11648
	;; [unrolled: 1-line block ×4, first 2 shown]
	ds_load_b128 v[37:40], v255
	global_wb scope:SCOPE_SE
	s_wait_dscnt 0x0
	s_barrier_signal -1
	s_barrier_wait -1
	global_inv scope:SCOPE_SE
	v_add_f64_e32 v[1:2], v[1:2], v[5:6]
	v_add_f64_e32 v[3:4], v[3:4], v[7:8]
	;; [unrolled: 1-line block ×7, first 2 shown]
	v_add_f64_e64 v[91:92], v[23:24], -v[35:36]
	v_add_f64_e64 v[93:94], v[27:28], -v[31:32]
	v_add_f64_e32 v[95:96], v[39:40], v[23:24]
	v_add_f64_e64 v[97:98], v[21:22], -v[33:34]
	v_add_f64_e64 v[19:20], v[25:26], -v[29:30]
	v_fma_f64 v[79:80], v[41:42], s[12:13], v[47:48]
	v_fma_f64 v[81:82], v[45:46], s[12:13], v[49:50]
	;; [unrolled: 1-line block ×3, first 2 shown]
	s_wait_alu 0xfffe
	v_fma_f64 v[47:48], v[41:42], s[2:3], v[47:48]
	v_fma_f64 v[51:52], v[43:44], s[2:3], v[51:52]
	;; [unrolled: 1-line block ×5, first 2 shown]
	v_add_f64_e32 v[1:2], v[1:2], v[9:10]
	v_add_f64_e32 v[3:4], v[3:4], v[11:12]
	v_fma_f64 v[17:18], v[57:58], -0.5, v[37:38]
	v_fma_f64 v[37:38], v[59:60], -0.5, v[37:38]
	;; [unrolled: 1-line block ×4, first 2 shown]
	v_add_f64_e32 v[59:60], v[65:66], v[67:68]
	v_add_f64_e32 v[61:62], v[69:70], v[71:72]
	;; [unrolled: 1-line block ×3, first 2 shown]
	v_add_f64_e64 v[71:72], v[33:34], -v[29:30]
	v_add_f64_e64 v[73:74], v[29:30], -v[33:34]
	;; [unrolled: 1-line block ×4, first 2 shown]
	v_add_f64_e32 v[27:28], v[95:96], v[27:28]
	v_fma_f64 v[65:66], v[43:44], s[16:17], v[79:80]
	v_fma_f64 v[67:68], v[53:54], s[14:15], v[81:82]
	;; [unrolled: 1-line block ×4, first 2 shown]
	v_add_f64_e32 v[47:48], v[77:78], v[85:86]
	v_fma_f64 v[41:42], v[41:42], s[16:17], v[51:52]
	v_fma_f64 v[49:50], v[53:54], s[16:17], v[49:50]
	;; [unrolled: 1-line block ×3, first 2 shown]
	v_add_f64_e64 v[53:54], v[21:22], -v[25:26]
	v_add_f64_e64 v[21:22], v[25:26], -v[21:22]
	;; [unrolled: 1-line block ×4, first 2 shown]
	v_add_f64_e32 v[25:26], v[89:90], v[25:26]
	v_fma_f64 v[45:46], v[45:46], s[14:15], v[55:56]
                                        ; implicit-def: $vgpr88_vgpr89
	v_add_f64_e32 v[1:2], v[1:2], v[13:14]
	v_add_f64_e32 v[3:4], v[3:4], v[15:16]
	v_fma_f64 v[5:6], v[91:92], s[12:13], v[17:18]
	v_fma_f64 v[7:8], v[91:92], s[2:3], v[17:18]
	;; [unrolled: 1-line block ×8, first 2 shown]
	v_add_f64_e32 v[27:28], v[27:28], v[31:32]
	v_fma_f64 v[55:56], v[59:60], s[18:19], v[65:66]
	v_fma_f64 v[65:66], v[63:64], s[18:19], v[67:68]
	;; [unrolled: 1-line block ×7, first 2 shown]
	v_add_f64_e32 v[53:54], v[53:54], v[71:72]
	v_add_f64_e32 v[21:22], v[21:22], v[73:74]
	;; [unrolled: 1-line block ×5, first 2 shown]
	v_fma_f64 v[5:6], v[93:94], s[16:17], v[5:6]
	v_fma_f64 v[7:8], v[93:94], s[14:15], v[7:8]
	;; [unrolled: 1-line block ×9, first 2 shown]
                                        ; implicit-def: $vgpr84_vgpr85
                                        ; implicit-def: $vgpr92_vgpr93
	v_add_f64_e32 v[27:28], v[27:28], v[35:36]
	v_mul_f64_e32 v[39:40], s[20:21], v[55:56]
	v_mul_f64_e32 v[45:46], s[12:13], v[65:66]
	;; [unrolled: 1-line block ×8, first 2 shown]
	v_add_f64_e32 v[25:26], v[25:26], v[33:34]
	v_fma_f64 v[5:6], v[53:54], s[18:19], v[5:6]
	v_fma_f64 v[7:8], v[53:54], s[18:19], v[7:8]
	;; [unrolled: 1-line block ×10, first 2 shown]
	v_fma_f64 v[29:30], v[49:50], s[12:13], -v[47:48]
	v_fma_f64 v[31:32], v[51:52], s[16:17], -v[57:58]
	v_fma_f64 v[33:34], v[37:38], s[20:21], v[55:56]
	v_fma_f64 v[35:36], v[65:66], s[18:19], v[61:62]
	v_fma_f64 v[37:38], v[67:68], s[2:3], -v[63:64]
	v_fma_f64 v[68:69], v[43:44], s[14:15], -v[69:70]
	v_add_f64_e32 v[42:43], v[27:28], v[3:4]
	v_add_f64_e64 v[58:59], v[27:28], -v[3:4]
	s_load_b64 s[2:3], s[0:1], 0x38
	v_add_f64_e32 v[40:41], v[25:26], v[1:2]
	v_add_f64_e64 v[56:57], v[25:26], -v[1:2]
	v_mul_lo_u16 v1, v0, 10
	s_delay_alu instid0(VALU_DEP_1) | instskip(NEXT) | instid1(VALU_DEP_1)
	v_and_b32_e32 v1, 0xffff, v1
	v_lshlrev_b32_e32 v212, 4, v1
	v_add_f64_e32 v[80:81], v[5:6], v[21:22]
	v_add_f64_e32 v[64:65], v[9:10], v[23:24]
	v_add_f64_e32 v[76:77], v[11:12], v[29:30]
	v_add_f64_e32 v[60:61], v[7:8], v[31:32]
	v_add_f64_e32 v[82:83], v[13:14], v[33:34]
	v_add_f64_e32 v[66:67], v[17:18], v[35:36]
	v_add_f64_e32 v[78:79], v[19:20], v[37:38]
	v_add_f64_e32 v[62:63], v[15:16], v[68:69]
	v_add_f64_e64 v[44:45], v[5:6], -v[21:22]
	v_add_f64_e64 v[48:49], v[9:10], -v[23:24]
	;; [unrolled: 1-line block ×8, first 2 shown]
	ds_store_b128 v212, v[40:43]
	ds_store_b128 v212, v[80:83] offset:16
	ds_store_b128 v212, v[64:67] offset:32
	;; [unrolled: 1-line block ×9, first 2 shown]
	global_wb scope:SCOPE_SE
	s_wait_dscnt 0x0
	s_wait_kmcnt 0x0
	s_barrier_signal -1
	s_barrier_wait -1
	global_inv scope:SCOPE_SE
	s_and_saveexec_b32 s0, vcc_lo
	s_cbranch_execz .LBB0_3
; %bb.2:
	ds_load_b128 v[40:43], v255
	ds_load_b128 v[80:83], v255 offset:2240
	ds_load_b128 v[64:67], v255 offset:4480
	;; [unrolled: 1-line block ×12, first 2 shown]
.LBB0_3:
	s_wait_alu 0xfffe
	s_or_b32 exec_lo, exec_lo, s0
	scratch_load_b32 v1, off, off           ; 4-byte Folded Reload
	s_mov_b32 s23, 0xbfddbe06
	s_mov_b32 s22, 0x4267c47c
	;; [unrolled: 1-line block ×30, first 2 shown]
	s_wait_loadcnt 0x0
	v_and_b32_e32 v0, 0xff, v1
	s_delay_alu instid0(VALU_DEP_1) | instskip(NEXT) | instid1(VALU_DEP_1)
	v_mul_lo_u16 v0, 0xcd, v0
	v_lshrrev_b16 v132, 11, v0
	s_delay_alu instid0(VALU_DEP_1) | instskip(SKIP_1) | instid1(VALU_DEP_2)
	v_mul_lo_u16 v0, v132, 10
	v_and_b32_e32 v132, 0xffff, v132
	v_sub_nc_u16 v0, v1, v0
	s_delay_alu instid0(VALU_DEP_1) | instskip(SKIP_2) | instid1(VALU_DEP_1)
	v_and_b32_e32 v0, 0xff, v0
	scratch_store_b32 off, v0, off offset:188 ; 4-byte Folded Spill
	v_mul_u32_u24_e32 v0, 12, v0
	v_lshlrev_b32_e32 v2, 4, v0
	s_clause 0x3
	global_load_b128 v[68:71], v2, s[10:11]
	global_load_b128 v[100:103], v2, s[10:11] offset:16
	global_load_b128 v[124:127], v2, s[10:11] offset:176
	;; [unrolled: 1-line block ×3, first 2 shown]
	s_wait_loadcnt_dscnt 0x30b
	v_mul_f64_e32 v[0:1], v[82:83], v[70:71]
	s_delay_alu instid0(VALU_DEP_1) | instskip(SKIP_1) | instid1(VALU_DEP_1)
	v_fma_f64 v[162:163], v[80:81], v[68:69], -v[0:1]
	v_mul_f64_e32 v[0:1], v[80:81], v[70:71]
	v_fma_f64 v[164:165], v[82:83], v[68:69], v[0:1]
	s_wait_loadcnt_dscnt 0x100
	v_mul_f64_e32 v[0:1], v[92:93], v[126:127]
	s_delay_alu instid0(VALU_DEP_1) | instskip(SKIP_1) | instid1(VALU_DEP_2)
	v_fma_f64 v[4:5], v[94:95], v[124:125], v[0:1]
	v_mul_f64_e32 v[0:1], v[94:95], v[126:127]
	v_add_f64_e32 v[225:226], v[164:165], v[4:5]
	s_delay_alu instid0(VALU_DEP_2) | instskip(SKIP_1) | instid1(VALU_DEP_2)
	v_fma_f64 v[6:7], v[92:93], v[124:125], -v[0:1]
	v_mul_f64_e32 v[0:1], v[66:67], v[102:103]
	v_add_f64_e32 v[206:207], v[162:163], v[6:7]
	s_delay_alu instid0(VALU_DEP_2) | instskip(SKIP_2) | instid1(VALU_DEP_2)
	v_fma_f64 v[12:13], v[64:65], v[100:101], -v[0:1]
	v_mul_f64_e32 v[0:1], v[64:65], v[102:103]
	v_add_f64_e64 v[108:109], v[162:163], -v[6:7]
	v_fma_f64 v[14:15], v[66:67], v[100:101], v[0:1]
	s_wait_loadcnt 0x0
	v_mul_f64_e32 v[0:1], v[84:85], v[106:107]
	s_clause 0x1
	global_load_b128 v[80:83], v2, s[10:11] offset:32
	global_load_b128 v[64:67], v2, s[10:11] offset:48
	v_mul_f64_e32 v[221:222], s[22:23], v[108:109]
	v_mul_f64_e32 v[168:169], s[28:29], v[108:109]
	;; [unrolled: 1-line block ×3, first 2 shown]
	v_fma_f64 v[8:9], v[86:87], v[104:105], v[0:1]
	v_mul_f64_e32 v[0:1], v[86:87], v[106:107]
	s_delay_alu instid0(VALU_DEP_2) | instskip(NEXT) | instid1(VALU_DEP_2)
	v_add_f64_e32 v[170:171], v[14:15], v[8:9]
	v_fma_f64 v[10:11], v[84:85], v[104:105], -v[0:1]
	s_clause 0x1
	global_load_b128 v[84:87], v2, s[10:11] offset:144
	global_load_b128 v[92:95], v2, s[10:11] offset:128
	v_add_f64_e32 v[166:167], v[12:13], v[10:11]
	v_add_f64_e64 v[110:111], v[12:13], -v[10:11]
	s_delay_alu instid0(VALU_DEP_1) | instskip(SKIP_2) | instid1(VALU_DEP_2)
	v_mul_f64_e32 v[215:216], s[38:39], v[110:111]
	v_mul_f64_e32 v[243:244], s[36:37], v[110:111]
	s_wait_alu 0xfffe
	v_fma_f64 v[128:129], v[170:171], s[18:19], -v[215:216]
	s_delay_alu instid0(VALU_DEP_2) | instskip(SKIP_2) | instid1(VALU_DEP_1)
	v_fma_f64 v[158:159], v[170:171], s[14:15], -v[243:244]
	s_wait_loadcnt 0x3
	v_mul_f64_e32 v[0:1], v[78:79], v[82:83]
	v_fma_f64 v[16:17], v[76:77], v[80:81], -v[0:1]
	v_mul_f64_e32 v[0:1], v[76:77], v[82:83]
	s_delay_alu instid0(VALU_DEP_1) | instskip(SKIP_2) | instid1(VALU_DEP_1)
	v_fma_f64 v[18:19], v[78:79], v[80:81], v[0:1]
	s_wait_loadcnt 0x1
	v_mul_f64_e32 v[0:1], v[90:91], v[86:87]
	v_fma_f64 v[20:21], v[88:89], v[84:85], -v[0:1]
	v_mul_f64_e32 v[0:1], v[88:89], v[86:87]
	s_delay_alu instid0(VALU_DEP_2) | instskip(NEXT) | instid1(VALU_DEP_2)
	v_add_f64_e32 v[174:175], v[16:17], v[20:21]
	v_fma_f64 v[22:23], v[90:91], v[84:85], v[0:1]
	v_mul_f64_e32 v[0:1], v[62:63], v[66:67]
	v_add_f64_e64 v[114:115], v[16:17], -v[20:21]
	s_delay_alu instid0(VALU_DEP_3) | instskip(NEXT) | instid1(VALU_DEP_3)
	v_add_f64_e64 v[112:113], v[18:19], -v[22:23]
	v_fma_f64 v[28:29], v[60:61], v[64:65], -v[0:1]
	v_mul_f64_e32 v[0:1], v[60:61], v[66:67]
	v_add_f64_e64 v[60:61], v[164:165], -v[4:5]
	v_add_f64_e32 v[178:179], v[18:19], v[22:23]
	v_mul_f64_e32 v[245:246], s[24:25], v[114:115]
	v_mul_f64_e32 v[184:185], s[30:31], v[114:115]
	;; [unrolled: 1-line block ×3, first 2 shown]
	v_fma_f64 v[30:31], v[62:63], v[64:65], v[0:1]
	s_wait_loadcnt 0x0
	v_mul_f64_e32 v[0:1], v[74:75], v[94:95]
	v_mul_f64_e32 v[204:205], s[22:23], v[60:61]
	v_add_f64_e64 v[62:63], v[14:15], -v[8:9]
	v_mul_f64_e32 v[253:254], s[24:25], v[60:61]
	s_mov_b32 s23, 0x3fddbe06
	v_mul_f64_e32 v[116:117], s[28:29], v[60:61]
	s_wait_alu 0xfffe
	v_mul_f64_e32 v[223:224], s[22:23], v[114:115]
	v_mul_f64_e32 v[188:189], s[22:23], v[110:111]
	v_fma_f64 v[24:25], v[72:73], v[92:93], -v[0:1]
	v_mul_f64_e32 v[0:1], v[72:73], v[94:95]
	v_mul_f64_e32 v[227:228], s[36:37], v[62:63]
	;; [unrolled: 1-line block ×3, first 2 shown]
	s_delay_alu instid0(VALU_DEP_4) | instskip(NEXT) | instid1(VALU_DEP_4)
	v_add_f64_e32 v[182:183], v[28:29], v[24:25]
	v_fma_f64 v[26:27], v[74:75], v[92:93], v[0:1]
	s_clause 0x3
	global_load_b128 v[76:79], v2, s[10:11] offset:64
	global_load_b128 v[72:75], v2, s[10:11] offset:80
	;; [unrolled: 1-line block ×4, first 2 shown]
	v_mul_f64_e32 v[2:3], s[24:25], v[62:63]
	v_add_f64_e64 v[136:137], v[28:29], -v[24:25]
	s_clause 0x1
	scratch_store_b64 off, v[6:7], off offset:196
	scratch_store_b64 off, v[4:5], off offset:4
	v_mul_f64_e32 v[4:5], s[24:25], v[110:111]
	v_add_f64_e64 v[118:119], v[30:31], -v[26:27]
	v_add_f64_e32 v[190:191], v[30:31], v[26:27]
	scratch_store_b64 off, v[2:3], off offset:300 ; 8-byte Folded Spill
	v_fma_f64 v[2:3], v[166:167], s[0:1], v[2:3]
	s_clause 0x3
	scratch_store_b64 off, v[10:11], off offset:212
	scratch_store_b64 off, v[12:13], off offset:220
	;; [unrolled: 1-line block ×4, first 2 shown]
	v_mul_f64_e32 v[36:37], s[22:23], v[136:137]
	v_mul_f64_e32 v[229:230], s[28:29], v[136:137]
	scratch_store_b64 off, v[4:5], off offset:308 ; 8-byte Folded Spill
	v_fma_f64 v[4:5], v[170:171], s[0:1], -v[4:5]
	v_mul_f64_e32 v[213:214], s[28:29], v[118:119]
	s_wait_loadcnt 0x3
	v_mul_f64_e32 v[0:1], v[58:59], v[78:79]
	s_delay_alu instid0(VALU_DEP_1) | instskip(SKIP_1) | instid1(VALU_DEP_1)
	v_fma_f64 v[160:161], v[56:57], v[76:77], -v[0:1]
	v_mul_f64_e32 v[0:1], v[56:57], v[78:79]
	v_fma_f64 v[56:57], v[58:59], v[76:77], v[0:1]
	s_wait_loadcnt 0x1
	v_mul_f64_e32 v[0:1], v[54:55], v[98:99]
	s_delay_alu instid0(VALU_DEP_1) | instskip(SKIP_1) | instid1(VALU_DEP_2)
	v_fma_f64 v[58:59], v[52:53], v[96:97], -v[0:1]
	v_mul_f64_e32 v[0:1], v[52:53], v[98:99]
	v_add_f64_e32 v[186:187], v[160:161], v[58:59]
	s_delay_alu instid0(VALU_DEP_2) | instskip(SKIP_2) | instid1(VALU_DEP_3)
	v_fma_f64 v[52:53], v[54:55], v[96:97], v[0:1]
	v_mul_f64_e32 v[0:1], v[46:47], v[74:75]
	v_add_f64_e64 v[133:134], v[160:161], -v[58:59]
	v_add_f64_e64 v[138:139], v[56:57], -v[52:53]
	s_delay_alu instid0(VALU_DEP_3)
	v_fma_f64 v[54:55], v[44:45], v[72:73], -v[0:1]
	v_mul_f64_e32 v[0:1], v[44:45], v[74:75]
	v_add_f64_e32 v[198:199], v[56:57], v[52:53]
	v_mul_f64_e32 v[208:209], s[24:25], v[133:134]
	v_mul_f64_e32 v[251:252], s[22:23], v[133:134]
	;; [unrolled: 1-line block ×3, first 2 shown]
	v_fma_f64 v[46:47], v[46:47], v[72:73], v[0:1]
	s_wait_loadcnt 0x0
	v_mul_f64_e32 v[0:1], v[50:51], v[90:91]
	s_delay_alu instid0(VALU_DEP_1) | instskip(SKIP_1) | instid1(VALU_DEP_2)
	v_fma_f64 v[44:45], v[48:49], v[88:89], -v[0:1]
	v_mul_f64_e32 v[0:1], v[48:49], v[90:91]
	v_add_f64_e32 v[194:195], v[54:55], v[44:45]
	s_delay_alu instid0(VALU_DEP_2) | instskip(SKIP_3) | instid1(VALU_DEP_4)
	v_fma_f64 v[48:49], v[50:51], v[88:89], v[0:1]
	v_fma_f64 v[0:1], v[206:207], s[12:13], v[204:205]
	v_add_f64_e64 v[196:197], v[54:55], -v[44:45]
	v_mul_f64_e32 v[50:51], s[24:25], v[108:109]
	v_add_f64_e64 v[192:193], v[46:47], -v[48:49]
	s_delay_alu instid0(VALU_DEP_4)
	v_add_f64_e32 v[0:1], v[40:41], v[0:1]
	v_add_f64_e32 v[202:203], v[46:47], v[48:49]
	v_mul_f64_e32 v[200:201], s[34:35], v[196:197]
	v_mul_f64_e32 v[210:211], s[30:31], v[196:197]
	;; [unrolled: 1-line block ×4, first 2 shown]
	v_add_f64_e32 v[0:1], v[2:3], v[0:1]
	v_fma_f64 v[2:3], v[225:226], s[12:13], -v[221:222]
	s_delay_alu instid0(VALU_DEP_1) | instskip(NEXT) | instid1(VALU_DEP_1)
	v_add_f64_e32 v[2:3], v[42:43], v[2:3]
	v_add_f64_e32 v[2:3], v[4:5], v[2:3]
	v_mul_f64_e32 v[4:5], s[28:29], v[112:113]
	scratch_store_b64 off, v[4:5], off offset:316 ; 8-byte Folded Spill
	v_fma_f64 v[4:5], v[174:175], s[14:15], v[4:5]
	s_clause 0x3
	scratch_store_b64 off, v[16:17], off offset:236
	scratch_store_b64 off, v[20:21], off offset:252
	;; [unrolled: 1-line block ×4, first 2 shown]
	v_add_f64_e32 v[0:1], v[4:5], v[0:1]
	v_mul_f64_e32 v[4:5], s[28:29], v[114:115]
	s_mov_b32 s29, 0x3fcea1e5
	s_mov_b32 s28, s34
	s_wait_alu 0xfffe
	v_mul_f64_e32 v[217:218], s[28:29], v[138:139]
	v_mul_f64_e32 v[233:234], s[28:29], v[133:134]
	;; [unrolled: 1-line block ×4, first 2 shown]
	scratch_store_b64 off, v[4:5], off offset:324 ; 8-byte Folded Spill
	v_fma_f64 v[4:5], v[178:179], s[14:15], -v[4:5]
	s_delay_alu instid0(VALU_DEP_1)
	v_add_f64_e32 v[2:3], v[4:5], v[2:3]
	v_mul_f64_e32 v[4:5], s[26:27], v[118:119]
	scratch_store_b64 off, v[4:5], off offset:332 ; 8-byte Folded Spill
	v_fma_f64 v[4:5], v[182:183], s[16:17], v[4:5]
	s_clause 0x3
	scratch_store_b64 off, v[24:25], off offset:268
	scratch_store_b64 off, v[28:29], off offset:284
	;; [unrolled: 1-line block ×4, first 2 shown]
	v_mul_f64_e32 v[24:25], s[22:23], v[196:197]
	scratch_store_b32 off, v132, off offset:192 ; 4-byte Folded Spill
	v_add_f64_e32 v[0:1], v[4:5], v[0:1]
	v_mul_f64_e32 v[4:5], s[26:27], v[136:137]
	scratch_store_b64 off, v[4:5], off offset:348 ; 8-byte Folded Spill
	v_fma_f64 v[4:5], v[190:191], s[16:17], -v[4:5]
	s_delay_alu instid0(VALU_DEP_1) | instskip(SKIP_3) | instid1(VALU_DEP_1)
	v_add_f64_e32 v[2:3], v[4:5], v[2:3]
	v_mul_f64_e32 v[4:5], s[30:31], v[138:139]
	scratch_store_b64 off, v[4:5], off offset:340 ; 8-byte Folded Spill
	v_fma_f64 v[4:5], v[186:187], s[18:19], v[4:5]
	v_add_f64_e32 v[0:1], v[4:5], v[0:1]
	v_mul_f64_e32 v[4:5], s[30:31], v[133:134]
	scratch_store_b64 off, v[4:5], off offset:364 ; 8-byte Folded Spill
	v_fma_f64 v[4:5], v[198:199], s[18:19], -v[4:5]
	s_delay_alu instid0(VALU_DEP_1)
	v_add_f64_e32 v[2:3], v[4:5], v[2:3]
	v_mul_f64_e32 v[4:5], s[34:35], v[192:193]
	scratch_store_b64 off, v[4:5], off offset:356 ; 8-byte Folded Spill
	v_fma_f64 v[4:5], v[194:195], s[20:21], v[4:5]
	global_wb scope:SCOPE_SE
	s_wait_storecnt 0x0
	s_barrier_signal -1
	s_barrier_wait -1
	global_inv scope:SCOPE_SE
	v_add_f64_e32 v[140:141], v[4:5], v[0:1]
	v_fma_f64 v[0:1], v[202:203], s[20:21], -v[200:201]
	s_delay_alu instid0(VALU_DEP_1) | instskip(SKIP_1) | instid1(VALU_DEP_1)
	v_add_f64_e32 v[142:143], v[0:1], v[2:3]
	v_fma_f64 v[0:1], v[206:207], s[0:1], v[253:254]
	v_add_f64_e32 v[2:3], v[40:41], v[0:1]
	v_mul_f64_e32 v[0:1], s[26:27], v[62:63]
	s_delay_alu instid0(VALU_DEP_1) | instskip(NEXT) | instid1(VALU_DEP_1)
	v_fma_f64 v[4:5], v[166:167], s[16:17], v[0:1]
	v_add_f64_e32 v[6:7], v[4:5], v[2:3]
	v_fma_f64 v[2:3], v[225:226], s[0:1], -v[50:51]
	v_mul_f64_e32 v[4:5], s[26:27], v[110:111]
	s_delay_alu instid0(VALU_DEP_2) | instskip(NEXT) | instid1(VALU_DEP_2)
	v_add_f64_e32 v[2:3], v[42:43], v[2:3]
	v_fma_f64 v[8:9], v[170:171], s[16:17], -v[4:5]
	s_delay_alu instid0(VALU_DEP_1) | instskip(SKIP_1) | instid1(VALU_DEP_1)
	v_add_f64_e32 v[10:11], v[8:9], v[2:3]
	v_mul_f64_e32 v[2:3], s[34:35], v[112:113]
	v_fma_f64 v[8:9], v[174:175], s[20:21], v[2:3]
	s_delay_alu instid0(VALU_DEP_1) | instskip(SKIP_1) | instid1(VALU_DEP_1)
	v_add_f64_e32 v[12:13], v[8:9], v[6:7]
	v_mul_f64_e32 v[8:9], s[34:35], v[114:115]
	v_fma_f64 v[6:7], v[178:179], s[20:21], -v[8:9]
	s_delay_alu instid0(VALU_DEP_1) | instskip(SKIP_1) | instid1(VALU_DEP_1)
	v_add_f64_e32 v[10:11], v[6:7], v[10:11]
	v_mul_f64_e32 v[6:7], s[38:39], v[118:119]
	v_fma_f64 v[14:15], v[182:183], s[18:19], v[6:7]
	s_delay_alu instid0(VALU_DEP_1) | instskip(SKIP_1) | instid1(VALU_DEP_1)
	v_add_f64_e32 v[14:15], v[14:15], v[12:13]
	v_mul_f64_e32 v[12:13], s[38:39], v[136:137]
	v_fma_f64 v[16:17], v[190:191], s[18:19], -v[12:13]
	s_delay_alu instid0(VALU_DEP_1) | instskip(SKIP_1) | instid1(VALU_DEP_1)
	v_add_f64_e32 v[16:17], v[16:17], v[10:11]
	v_mul_f64_e32 v[10:11], s[36:37], v[138:139]
	v_fma_f64 v[18:19], v[186:187], s[14:15], v[10:11]
	s_delay_alu instid0(VALU_DEP_1) | instskip(SKIP_1) | instid1(VALU_DEP_1)
	v_add_f64_e32 v[20:21], v[18:19], v[14:15]
	v_mul_f64_e32 v[18:19], s[36:37], v[133:134]
	v_fma_f64 v[14:15], v[198:199], s[14:15], -v[18:19]
	s_delay_alu instid0(VALU_DEP_1) | instskip(SKIP_1) | instid1(VALU_DEP_1)
	v_add_f64_e32 v[16:17], v[14:15], v[16:17]
	v_mul_f64_e32 v[14:15], s[22:23], v[192:193]
	v_fma_f64 v[22:23], v[194:195], s[12:13], v[14:15]
	s_delay_alu instid0(VALU_DEP_1) | instskip(SKIP_1) | instid1(VALU_DEP_1)
	v_add_f64_e32 v[144:145], v[22:23], v[20:21]
	v_fma_f64 v[20:21], v[202:203], s[12:13], -v[24:25]
	v_add_f64_e32 v[146:147], v[20:21], v[16:17]
	v_fma_f64 v[16:17], v[206:207], s[14:15], v[116:117]
	s_delay_alu instid0(VALU_DEP_1) | instskip(SKIP_1) | instid1(VALU_DEP_1)
	v_add_f64_e32 v[20:21], v[40:41], v[16:17]
	v_mul_f64_e32 v[16:17], s[34:35], v[62:63]
	v_fma_f64 v[22:23], v[166:167], s[20:21], v[16:17]
	s_delay_alu instid0(VALU_DEP_1) | instskip(SKIP_3) | instid1(VALU_DEP_3)
	v_add_f64_e32 v[26:27], v[22:23], v[20:21]
	v_fma_f64 v[20:21], v[225:226], s[14:15], -v[168:169]
	v_mul_f64_e32 v[22:23], s[34:35], v[110:111]
	v_fma_f64 v[110:111], v[170:171], s[12:13], -v[188:189]
	v_add_f64_e32 v[20:21], v[42:43], v[20:21]
	s_delay_alu instid0(VALU_DEP_3) | instskip(NEXT) | instid1(VALU_DEP_1)
	v_fma_f64 v[28:29], v[170:171], s[20:21], -v[22:23]
	v_add_f64_e32 v[30:31], v[28:29], v[20:21]
	v_mul_f64_e32 v[20:21], s[40:41], v[112:113]
	s_delay_alu instid0(VALU_DEP_1) | instskip(NEXT) | instid1(VALU_DEP_1)
	v_fma_f64 v[28:29], v[174:175], s[16:17], v[20:21]
	v_add_f64_e32 v[32:33], v[28:29], v[26:27]
	v_mul_f64_e32 v[28:29], s[40:41], v[114:115]
	s_delay_alu instid0(VALU_DEP_1) | instskip(NEXT) | instid1(VALU_DEP_1)
	v_fma_f64 v[26:27], v[178:179], s[16:17], -v[28:29]
	v_add_f64_e32 v[30:31], v[26:27], v[30:31]
	v_mul_f64_e32 v[26:27], s[22:23], v[118:119]
	s_delay_alu instid0(VALU_DEP_1) | instskip(NEXT) | instid1(VALU_DEP_1)
	v_fma_f64 v[34:35], v[182:183], s[12:13], v[26:27]
	v_add_f64_e32 v[32:33], v[34:35], v[32:33]
	v_fma_f64 v[34:35], v[190:191], s[12:13], -v[36:37]
	s_delay_alu instid0(VALU_DEP_1) | instskip(SKIP_1) | instid1(VALU_DEP_1)
	v_add_f64_e32 v[34:35], v[34:35], v[30:31]
	v_mul_f64_e32 v[30:31], s[24:25], v[138:139]
	v_fma_f64 v[38:39], v[186:187], s[0:1], v[30:31]
	s_delay_alu instid0(VALU_DEP_1) | instskip(SKIP_1) | instid1(VALU_DEP_1)
	v_add_f64_e32 v[38:39], v[38:39], v[32:33]
	v_fma_f64 v[32:33], v[198:199], s[0:1], -v[208:209]
	v_add_f64_e32 v[34:35], v[32:33], v[34:35]
	v_mul_f64_e32 v[32:33], s[30:31], v[192:193]
	s_delay_alu instid0(VALU_DEP_1) | instskip(NEXT) | instid1(VALU_DEP_1)
	v_fma_f64 v[120:121], v[194:195], s[18:19], v[32:33]
	v_add_f64_e32 v[148:149], v[120:121], v[38:39]
	v_fma_f64 v[38:39], v[202:203], s[18:19], -v[210:211]
	v_mul_f64_e32 v[120:121], s[26:27], v[60:61]
	s_delay_alu instid0(VALU_DEP_2) | instskip(NEXT) | instid1(VALU_DEP_2)
	v_add_f64_e32 v[150:151], v[38:39], v[34:35]
	v_fma_f64 v[34:35], v[206:207], s[16:17], v[120:121]
	s_delay_alu instid0(VALU_DEP_1)
	v_add_f64_e32 v[38:39], v[40:41], v[34:35]
	v_mul_f64_e32 v[34:35], s[38:39], v[62:63]
	s_mov_b32 s39, 0x3fea55e2
	s_mov_b32 s38, s24
	s_wait_alu 0xfffe
	v_mul_f64_e32 v[219:220], s[38:39], v[192:193]
	v_mul_f64_e32 v[237:238], s[38:39], v[196:197]
	;; [unrolled: 1-line block ×3, first 2 shown]
	s_delay_alu instid0(VALU_DEP_4) | instskip(NEXT) | instid1(VALU_DEP_1)
	v_fma_f64 v[122:123], v[166:167], s[18:19], v[34:35]
	v_add_f64_e32 v[122:123], v[122:123], v[38:39]
	v_fma_f64 v[38:39], v[225:226], s[16:17], -v[176:177]
	s_delay_alu instid0(VALU_DEP_1) | instskip(NEXT) | instid1(VALU_DEP_1)
	v_add_f64_e32 v[38:39], v[42:43], v[38:39]
	v_add_f64_e32 v[128:129], v[128:129], v[38:39]
	v_mul_f64_e32 v[38:39], s[22:23], v[112:113]
	s_delay_alu instid0(VALU_DEP_1) | instskip(NEXT) | instid1(VALU_DEP_1)
	v_fma_f64 v[130:131], v[174:175], s[12:13], v[38:39]
	v_add_f64_e32 v[122:123], v[130:131], v[122:123]
	v_fma_f64 v[130:131], v[178:179], s[12:13], -v[223:224]
	s_delay_alu instid0(VALU_DEP_1) | instskip(SKIP_1) | instid1(VALU_DEP_1)
	v_add_f64_e32 v[128:129], v[130:131], v[128:129]
	v_fma_f64 v[130:131], v[182:183], s[14:15], v[213:214]
	v_add_f64_e32 v[122:123], v[130:131], v[122:123]
	v_fma_f64 v[130:131], v[190:191], s[14:15], -v[229:230]
	s_delay_alu instid0(VALU_DEP_1) | instskip(SKIP_1) | instid1(VALU_DEP_1)
	v_add_f64_e32 v[128:129], v[130:131], v[128:129]
	;; [unrolled: 5-line block ×3, first 2 shown]
	v_fma_f64 v[130:131], v[194:195], s[0:1], v[219:220]
	v_add_f64_e32 v[152:153], v[130:131], v[122:123]
	v_fma_f64 v[122:123], v[202:203], s[0:1], -v[237:238]
	v_fma_f64 v[130:131], v[166:167], s[14:15], v[227:228]
	s_delay_alu instid0(VALU_DEP_2) | instskip(SKIP_2) | instid1(VALU_DEP_2)
	v_add_f64_e32 v[154:155], v[122:123], v[128:129]
	v_mul_f64_e32 v[128:129], s[30:31], v[60:61]
	v_mul_f64_e32 v[60:61], s[34:35], v[60:61]
	v_fma_f64 v[122:123], v[206:207], s[18:19], v[128:129]
	s_delay_alu instid0(VALU_DEP_2) | instskip(NEXT) | instid1(VALU_DEP_2)
	v_fma_f64 v[62:63], v[206:207], s[20:21], v[60:61]
	v_add_f64_e32 v[122:123], v[40:41], v[122:123]
	s_delay_alu instid0(VALU_DEP_2) | instskip(NEXT) | instid1(VALU_DEP_2)
	v_add_f64_e32 v[62:63], v[40:41], v[62:63]
	v_add_f64_e32 v[122:123], v[130:131], v[122:123]
	v_mul_f64_e32 v[130:131], s[30:31], v[108:109]
	s_delay_alu instid0(VALU_DEP_1) | instskip(NEXT) | instid1(VALU_DEP_1)
	v_fma_f64 v[156:157], v[225:226], s[18:19], -v[130:131]
	v_add_f64_e32 v[156:157], v[42:43], v[156:157]
	s_delay_alu instid0(VALU_DEP_1) | instskip(SKIP_1) | instid1(VALU_DEP_1)
	v_add_f64_e32 v[156:157], v[158:159], v[156:157]
	v_fma_f64 v[158:159], v[174:175], s[0:1], v[231:232]
	v_add_f64_e32 v[122:123], v[158:159], v[122:123]
	v_fma_f64 v[158:159], v[178:179], s[0:1], -v[245:246]
	s_delay_alu instid0(VALU_DEP_1) | instskip(SKIP_1) | instid1(VALU_DEP_1)
	v_add_f64_e32 v[156:157], v[158:159], v[156:157]
	v_fma_f64 v[158:159], v[182:183], s[20:21], v[239:240]
	v_add_f64_e32 v[122:123], v[158:159], v[122:123]
	v_fma_f64 v[158:159], v[190:191], s[20:21], -v[247:248]
	;; [unrolled: 5-line block ×4, first 2 shown]
	s_delay_alu instid0(VALU_DEP_1) | instskip(SKIP_1) | instid1(VALU_DEP_1)
	v_add_f64_e32 v[158:159], v[122:123], v[158:159]
	v_fma_f64 v[122:123], v[166:167], s[12:13], v[180:181]
	v_add_f64_e32 v[172:173], v[122:123], v[62:63]
	v_mul_f64_e32 v[62:63], s[34:35], v[108:109]
	v_mul_f64_e32 v[122:123], s[30:31], v[112:113]
	v_fma_f64 v[112:113], v[178:179], s[18:19], -v[184:185]
	s_delay_alu instid0(VALU_DEP_3) | instskip(NEXT) | instid1(VALU_DEP_1)
	v_fma_f64 v[108:109], v[225:226], s[20:21], -v[62:63]
	v_add_f64_e32 v[108:109], v[42:43], v[108:109]
	s_delay_alu instid0(VALU_DEP_1) | instskip(SKIP_1) | instid1(VALU_DEP_2)
	v_add_f64_e32 v[108:109], v[110:111], v[108:109]
	v_fma_f64 v[110:111], v[174:175], s[18:19], v[122:123]
	v_add_f64_e32 v[108:109], v[112:113], v[108:109]
	s_delay_alu instid0(VALU_DEP_2) | instskip(SKIP_2) | instid1(VALU_DEP_2)
	v_add_f64_e32 v[110:111], v[110:111], v[172:173]
	v_fma_f64 v[112:113], v[182:183], s[0:1], v[118:119]
	v_mul_f64_e32 v[172:173], s[38:39], v[136:137]
	v_add_f64_e32 v[110:111], v[112:113], v[110:111]
	s_delay_alu instid0(VALU_DEP_2) | instskip(NEXT) | instid1(VALU_DEP_1)
	v_fma_f64 v[112:113], v[190:191], s[0:1], -v[172:173]
	v_add_f64_e32 v[108:109], v[112:113], v[108:109]
	v_mul_f64_e32 v[112:113], s[26:27], v[138:139]
	s_delay_alu instid0(VALU_DEP_1) | instskip(NEXT) | instid1(VALU_DEP_1)
	v_fma_f64 v[114:115], v[186:187], s[16:17], v[112:113]
	v_add_f64_e32 v[135:136], v[114:115], v[110:111]
	v_mul_f64_e32 v[114:115], s[26:27], v[133:134]
	s_delay_alu instid0(VALU_DEP_1) | instskip(NEXT) | instid1(VALU_DEP_1)
	v_fma_f64 v[110:111], v[198:199], s[16:17], -v[114:115]
	v_add_f64_e32 v[133:134], v[110:111], v[108:109]
	v_mul_f64_e32 v[108:109], s[36:37], v[192:193]
	v_mul_f64_e32 v[110:111], s[36:37], v[196:197]
	s_delay_alu instid0(VALU_DEP_2) | instskip(NEXT) | instid1(VALU_DEP_1)
	v_fma_f64 v[137:138], v[194:195], s[14:15], v[108:109]
	v_add_f64_e32 v[136:137], v[137:138], v[135:136]
	s_delay_alu instid0(VALU_DEP_3) | instskip(NEXT) | instid1(VALU_DEP_1)
	v_fma_f64 v[138:139], v[202:203], s[14:15], -v[110:111]
	v_add_f64_e32 v[138:139], v[138:139], v[133:134]
	s_and_saveexec_b32 s22, vcc_lo
	s_cbranch_execz .LBB0_5
; %bb.4:
	v_mul_f64_e32 v[132:133], s[20:21], v[225:226]
	v_mul_f64_e32 v[134:135], s[16:17], v[206:207]
	;; [unrolled: 1-line block ×3, first 2 shown]
	v_add_f64_e32 v[164:165], v[42:43], v[164:165]
	v_add_f64_e32 v[162:163], v[40:41], v[162:163]
	;; [unrolled: 1-line block ×3, first 2 shown]
	v_mul_f64_e32 v[132:133], s[20:21], v[206:207]
	v_add_f64_e64 v[120:121], v[134:135], -v[120:121]
	v_mul_f64_e32 v[134:135], s[14:15], v[225:226]
	v_add_f64_e64 v[192:193], v[192:193], -v[204:205]
	v_add_f64_e32 v[62:63], v[42:43], v[62:63]
	v_add_f64_e64 v[60:61], v[132:133], -v[60:61]
	v_mul_f64_e32 v[132:133], s[18:19], v[225:226]
	v_add_f64_e32 v[134:135], v[168:169], v[134:135]
	v_mul_f64_e32 v[168:169], s[14:15], v[206:207]
	v_add_f64_e32 v[120:121], v[40:41], v[120:121]
	v_add_f64_e32 v[192:193], v[40:41], v[192:193]
	;; [unrolled: 1-line block ×4, first 2 shown]
	v_mul_f64_e32 v[132:133], s[16:17], v[225:226]
	v_add_f64_e64 v[116:117], v[168:169], -v[116:117]
	v_mul_f64_e32 v[168:169], s[0:1], v[225:226]
	v_add_f64_e32 v[134:135], v[42:43], v[134:135]
	v_add_f64_e32 v[130:131], v[42:43], v[130:131]
	;; [unrolled: 1-line block ×3, first 2 shown]
	v_mul_f64_e32 v[176:177], s[18:19], v[206:207]
	v_add_f64_e32 v[50:51], v[50:51], v[168:169]
	v_mul_f64_e32 v[168:169], s[0:1], v[206:207]
	v_add_f64_e32 v[116:117], v[40:41], v[116:117]
	v_add_f64_e32 v[132:133], v[42:43], v[132:133]
	v_add_f64_e64 v[128:129], v[176:177], -v[128:129]
	v_mul_f64_e32 v[176:177], s[12:13], v[225:226]
	v_add_f64_e32 v[50:51], v[42:43], v[50:51]
	v_add_f64_e64 v[168:169], v[168:169], -v[253:254]
	s_delay_alu instid0(VALU_DEP_4) | instskip(NEXT) | instid1(VALU_DEP_4)
	v_add_f64_e32 v[128:129], v[40:41], v[128:129]
	v_add_f64_e32 v[176:177], v[221:222], v[176:177]
	s_delay_alu instid0(VALU_DEP_3) | instskip(SKIP_1) | instid1(VALU_DEP_3)
	v_add_f64_e32 v[168:169], v[40:41], v[168:169]
	v_mul_f64_e32 v[40:41], s[12:13], v[170:171]
	v_add_f64_e32 v[176:177], v[42:43], v[176:177]
	v_mul_f64_e32 v[42:43], s[12:13], v[166:167]
	s_delay_alu instid0(VALU_DEP_3) | instskip(NEXT) | instid1(VALU_DEP_2)
	v_add_f64_e32 v[40:41], v[188:189], v[40:41]
	v_add_f64_e64 v[42:43], v[42:43], -v[180:181]
	v_mul_f64_e32 v[180:181], s[18:19], v[178:179]
	s_delay_alu instid0(VALU_DEP_3) | instskip(SKIP_1) | instid1(VALU_DEP_4)
	v_add_f64_e32 v[40:41], v[40:41], v[62:63]
	v_mul_f64_e32 v[62:63], s[14:15], v[202:203]
	v_add_f64_e32 v[42:43], v[42:43], v[60:61]
	s_delay_alu instid0(VALU_DEP_4)
	v_add_f64_e32 v[180:181], v[184:185], v[180:181]
	v_mul_f64_e32 v[184:185], s[18:19], v[174:175]
	v_mul_f64_e32 v[60:61], s[16:17], v[186:187]
	v_add_f64_e32 v[62:63], v[110:111], v[62:63]
	v_mul_f64_e32 v[110:111], s[14:15], v[194:195]
	v_add_f64_e32 v[40:41], v[180:181], v[40:41]
	v_add_f64_e64 v[122:123], v[184:185], -v[122:123]
	v_mul_f64_e32 v[184:185], s[0:1], v[190:191]
	v_add_f64_e64 v[60:61], v[60:61], -v[112:113]
	v_add_f64_e64 v[108:109], v[110:111], -v[108:109]
	s_delay_alu instid0(VALU_DEP_4) | instskip(NEXT) | instid1(VALU_DEP_4)
	v_add_f64_e32 v[42:43], v[122:123], v[42:43]
	v_add_f64_e32 v[172:173], v[172:173], v[184:185]
	v_mul_f64_e32 v[184:185], s[0:1], v[182:183]
	s_delay_alu instid0(VALU_DEP_2) | instskip(NEXT) | instid1(VALU_DEP_2)
	v_add_f64_e32 v[40:41], v[172:173], v[40:41]
	v_add_f64_e64 v[118:119], v[184:185], -v[118:119]
	v_mul_f64_e32 v[184:185], s[16:17], v[198:199]
	s_delay_alu instid0(VALU_DEP_2) | instskip(NEXT) | instid1(VALU_DEP_2)
	v_add_f64_e32 v[42:43], v[118:119], v[42:43]
	v_add_f64_e32 v[114:115], v[114:115], v[184:185]
	s_delay_alu instid0(VALU_DEP_2) | instskip(NEXT) | instid1(VALU_DEP_2)
	v_add_f64_e32 v[60:61], v[60:61], v[42:43]
	v_add_f64_e32 v[40:41], v[114:115], v[40:41]
	s_delay_alu instid0(VALU_DEP_1) | instskip(NEXT) | instid1(VALU_DEP_3)
	v_add_f64_e32 v[42:43], v[62:63], v[40:41]
	v_add_f64_e32 v[40:41], v[108:109], v[60:61]
	v_mul_f64_e32 v[60:61], s[16:17], v[170:171]
	s_delay_alu instid0(VALU_DEP_1) | instskip(SKIP_1) | instid1(VALU_DEP_2)
	v_add_f64_e32 v[4:5], v[4:5], v[60:61]
	v_mul_f64_e32 v[60:61], s[16:17], v[166:167]
	v_add_f64_e32 v[4:5], v[4:5], v[50:51]
	s_delay_alu instid0(VALU_DEP_2) | instskip(SKIP_2) | instid1(VALU_DEP_3)
	v_add_f64_e64 v[0:1], v[60:61], -v[0:1]
	v_mul_f64_e32 v[60:61], s[20:21], v[178:179]
	v_mul_f64_e32 v[50:51], s[14:15], v[186:187]
	v_add_f64_e32 v[0:1], v[0:1], v[168:169]
	s_delay_alu instid0(VALU_DEP_3) | instskip(SKIP_1) | instid1(VALU_DEP_4)
	v_add_f64_e32 v[8:9], v[8:9], v[60:61]
	v_mul_f64_e32 v[60:61], s[20:21], v[174:175]
	v_add_f64_e64 v[10:11], v[50:51], -v[10:11]
	s_delay_alu instid0(VALU_DEP_3) | instskip(NEXT) | instid1(VALU_DEP_3)
	v_add_f64_e32 v[4:5], v[8:9], v[4:5]
	v_add_f64_e64 v[2:3], v[60:61], -v[2:3]
	v_mul_f64_e32 v[60:61], s[18:19], v[190:191]
	v_mul_f64_e32 v[8:9], s[16:17], v[178:179]
	s_delay_alu instid0(VALU_DEP_3) | instskip(NEXT) | instid1(VALU_DEP_3)
	v_add_f64_e32 v[0:1], v[2:3], v[0:1]
	v_add_f64_e32 v[12:13], v[12:13], v[60:61]
	v_mul_f64_e32 v[60:61], s[18:19], v[182:183]
	v_mul_f64_e32 v[2:3], s[12:13], v[202:203]
	v_add_f64_e32 v[8:9], v[28:29], v[8:9]
	scratch_load_b64 v[28:29], off, off offset:332 th:TH_LOAD_LU ; 8-byte Folded Reload
	v_add_f64_e32 v[4:5], v[12:13], v[4:5]
	v_add_f64_e64 v[6:7], v[60:61], -v[6:7]
	v_mul_f64_e32 v[60:61], s[14:15], v[198:199]
	v_add_f64_e32 v[2:3], v[24:25], v[2:3]
	v_mul_f64_e32 v[12:13], s[12:13], v[190:191]
	v_mul_f64_e32 v[24:25], s[12:13], v[198:199]
	v_add_f64_e32 v[0:1], v[6:7], v[0:1]
	v_add_f64_e32 v[18:19], v[18:19], v[60:61]
	v_mul_f64_e32 v[6:7], s[12:13], v[194:195]
	v_add_f64_e32 v[12:13], v[36:37], v[12:13]
	v_add_f64_e32 v[24:25], v[251:252], v[24:25]
	;; [unrolled: 1-line block ×4, first 2 shown]
	v_add_f64_e64 v[6:7], v[6:7], -v[14:15]
	v_mul_f64_e32 v[10:11], s[16:17], v[174:175]
	v_mul_f64_e32 v[14:15], s[12:13], v[182:183]
	;; [unrolled: 1-line block ×3, first 2 shown]
	v_add_f64_e32 v[2:3], v[2:3], v[4:5]
	v_add_f64_e32 v[0:1], v[6:7], v[0:1]
	v_mul_f64_e32 v[4:5], s[20:21], v[170:171]
	v_mul_f64_e32 v[6:7], s[20:21], v[166:167]
	v_add_f64_e64 v[10:11], v[10:11], -v[20:21]
	v_add_f64_e64 v[14:15], v[14:15], -v[26:27]
	;; [unrolled: 1-line block ×3, first 2 shown]
	v_mul_f64_e32 v[20:21], s[20:21], v[198:199]
	v_mul_f64_e32 v[26:27], s[12:13], v[186:187]
	scratch_load_b64 v[30:31], off, off offset:364 th:TH_LOAD_LU ; 8-byte Folded Reload
	v_add_f64_e32 v[4:5], v[22:23], v[4:5]
	v_add_f64_e64 v[6:7], v[6:7], -v[16:17]
	v_mul_f64_e32 v[16:17], s[0:1], v[198:199]
	v_mul_f64_e32 v[22:23], s[20:21], v[186:187]
	v_add_f64_e32 v[20:21], v[233:234], v[20:21]
	v_add_f64_e64 v[26:27], v[26:27], -v[241:242]
	v_add_f64_e32 v[4:5], v[4:5], v[134:135]
	v_add_f64_e32 v[6:7], v[6:7], v[116:117]
	;; [unrolled: 1-line block ×3, first 2 shown]
	v_add_f64_e64 v[22:23], v[22:23], -v[217:218]
	s_delay_alu instid0(VALU_DEP_4) | instskip(NEXT) | instid1(VALU_DEP_4)
	v_add_f64_e32 v[4:5], v[8:9], v[4:5]
	v_add_f64_e32 v[6:7], v[10:11], v[6:7]
	v_mul_f64_e32 v[8:9], s[18:19], v[202:203]
	v_mul_f64_e32 v[10:11], s[18:19], v[194:195]
	s_delay_alu instid0(VALU_DEP_4) | instskip(NEXT) | instid1(VALU_DEP_4)
	v_add_f64_e32 v[4:5], v[12:13], v[4:5]
	v_add_f64_e32 v[6:7], v[14:15], v[6:7]
	s_delay_alu instid0(VALU_DEP_4) | instskip(NEXT) | instid1(VALU_DEP_4)
	v_add_f64_e32 v[8:9], v[210:211], v[8:9]
	v_add_f64_e64 v[10:11], v[10:11], -v[32:33]
	scratch_load_b64 v[32:33], off, off offset:340 th:TH_LOAD_LU ; 8-byte Folded Reload
	v_mul_f64_e32 v[14:15], s[12:13], v[174:175]
	v_add_f64_e32 v[4:5], v[16:17], v[4:5]
	v_add_f64_e32 v[12:13], v[18:19], v[6:7]
	v_mul_f64_e32 v[16:17], s[14:15], v[190:191]
	v_mul_f64_e32 v[18:19], s[14:15], v[182:183]
	v_add_f64_e64 v[14:15], v[14:15], -v[38:39]
	v_add_f64_e32 v[6:7], v[8:9], v[4:5]
	v_add_f64_e32 v[4:5], v[10:11], v[12:13]
	v_mul_f64_e32 v[8:9], s[18:19], v[170:171]
	v_mul_f64_e32 v[10:11], s[18:19], v[166:167]
	;; [unrolled: 1-line block ×3, first 2 shown]
	v_add_f64_e32 v[16:17], v[229:230], v[16:17]
	v_add_f64_e64 v[18:19], v[18:19], -v[213:214]
	v_add_f64_e32 v[8:9], v[215:216], v[8:9]
	v_add_f64_e64 v[10:11], v[10:11], -v[34:35]
	v_add_f64_e32 v[12:13], v[223:224], v[12:13]
	s_delay_alu instid0(VALU_DEP_3) | instskip(NEXT) | instid1(VALU_DEP_3)
	v_add_f64_e32 v[8:9], v[8:9], v[132:133]
	v_add_f64_e32 v[10:11], v[10:11], v[120:121]
	s_delay_alu instid0(VALU_DEP_2) | instskip(NEXT) | instid1(VALU_DEP_2)
	v_add_f64_e32 v[8:9], v[12:13], v[8:9]
	v_add_f64_e32 v[10:11], v[14:15], v[10:11]
	v_mul_f64_e32 v[12:13], s[0:1], v[202:203]
	v_mul_f64_e32 v[14:15], s[0:1], v[194:195]
	s_delay_alu instid0(VALU_DEP_4) | instskip(NEXT) | instid1(VALU_DEP_4)
	v_add_f64_e32 v[8:9], v[16:17], v[8:9]
	v_add_f64_e32 v[10:11], v[18:19], v[10:11]
	s_delay_alu instid0(VALU_DEP_4) | instskip(NEXT) | instid1(VALU_DEP_4)
	v_add_f64_e32 v[12:13], v[237:238], v[12:13]
	v_add_f64_e64 v[14:15], v[14:15], -v[219:220]
	v_mul_f64_e32 v[18:19], s[0:1], v[174:175]
	v_add_f64_e32 v[8:9], v[20:21], v[8:9]
	v_add_f64_e32 v[16:17], v[22:23], v[10:11]
	v_mul_f64_e32 v[20:21], s[20:21], v[190:191]
	v_mul_f64_e32 v[22:23], s[20:21], v[182:183]
	v_add_f64_e64 v[18:19], v[18:19], -v[231:232]
	v_add_f64_e32 v[10:11], v[12:13], v[8:9]
	v_add_f64_e32 v[8:9], v[14:15], v[16:17]
	v_mul_f64_e32 v[12:13], s[14:15], v[170:171]
	v_mul_f64_e32 v[14:15], s[14:15], v[166:167]
	;; [unrolled: 1-line block ×3, first 2 shown]
	v_add_f64_e32 v[20:21], v[247:248], v[20:21]
	v_add_f64_e64 v[22:23], v[22:23], -v[239:240]
	v_add_f64_e32 v[12:13], v[243:244], v[12:13]
	v_add_f64_e64 v[14:15], v[14:15], -v[227:228]
	v_add_f64_e32 v[16:17], v[245:246], v[16:17]
	s_delay_alu instid0(VALU_DEP_3) | instskip(NEXT) | instid1(VALU_DEP_3)
	v_add_f64_e32 v[12:13], v[12:13], v[130:131]
	v_add_f64_e32 v[14:15], v[14:15], v[128:129]
	s_delay_alu instid0(VALU_DEP_2) | instskip(NEXT) | instid1(VALU_DEP_2)
	v_add_f64_e32 v[12:13], v[16:17], v[12:13]
	v_add_f64_e32 v[14:15], v[18:19], v[14:15]
	v_mul_f64_e32 v[16:17], s[16:17], v[202:203]
	v_mul_f64_e32 v[18:19], s[16:17], v[194:195]
	s_delay_alu instid0(VALU_DEP_4) | instskip(NEXT) | instid1(VALU_DEP_4)
	v_add_f64_e32 v[12:13], v[20:21], v[12:13]
	v_add_f64_e32 v[14:15], v[22:23], v[14:15]
	s_delay_alu instid0(VALU_DEP_4) | instskip(NEXT) | instid1(VALU_DEP_4)
	v_add_f64_e32 v[16:17], v[249:250], v[16:17]
	v_add_f64_e64 v[18:19], v[18:19], -v[235:236]
	scratch_load_b64 v[22:23], off, off offset:324 th:TH_LOAD_LU ; 8-byte Folded Reload
	v_add_f64_e32 v[12:13], v[24:25], v[12:13]
	scratch_load_b64 v[24:25], off, off offset:316 th:TH_LOAD_LU ; 8-byte Folded Reload
	v_add_f64_e32 v[20:21], v[26:27], v[14:15]
	;; [unrolled: 2-line block ×3, first 2 shown]
	v_mul_f64_e32 v[16:17], s[0:1], v[170:171]
	v_add_f64_e32 v[12:13], v[18:19], v[20:21]
	s_clause 0x1
	scratch_load_b64 v[18:19], off, off offset:308 th:TH_LOAD_LU
	scratch_load_b64 v[20:21], off, off offset:300 th:TH_LOAD_LU
	s_wait_loadcnt 0x1
	v_add_f64_e32 v[16:17], v[18:19], v[16:17]
	v_mul_f64_e32 v[18:19], s[0:1], v[166:167]
	s_delay_alu instid0(VALU_DEP_2) | instskip(SKIP_1) | instid1(VALU_DEP_2)
	v_add_f64_e32 v[16:17], v[16:17], v[176:177]
	s_wait_loadcnt 0x0
	v_add_f64_e64 v[18:19], v[18:19], -v[20:21]
	v_mul_f64_e32 v[20:21], s[14:15], v[178:179]
	s_delay_alu instid0(VALU_DEP_2) | instskip(NEXT) | instid1(VALU_DEP_2)
	v_add_f64_e32 v[18:19], v[18:19], v[192:193]
	v_add_f64_e32 v[20:21], v[22:23], v[20:21]
	v_mul_f64_e32 v[22:23], s[14:15], v[174:175]
	s_delay_alu instid0(VALU_DEP_2) | instskip(NEXT) | instid1(VALU_DEP_2)
	v_add_f64_e32 v[16:17], v[20:21], v[16:17]
	v_add_f64_e64 v[22:23], v[22:23], -v[24:25]
	v_mul_f64_e32 v[24:25], s[16:17], v[190:191]
	v_mul_f64_e32 v[20:21], s[20:21], v[202:203]
	s_delay_alu instid0(VALU_DEP_3) | instskip(NEXT) | instid1(VALU_DEP_3)
	v_add_f64_e32 v[18:19], v[22:23], v[18:19]
	v_add_f64_e32 v[24:25], v[26:27], v[24:25]
	v_mul_f64_e32 v[26:27], s[16:17], v[182:183]
	s_delay_alu instid0(VALU_DEP_4) | instskip(SKIP_1) | instid1(VALU_DEP_4)
	v_add_f64_e32 v[20:21], v[200:201], v[20:21]
	v_mul_f64_e32 v[22:23], s[20:21], v[194:195]
	v_add_f64_e32 v[16:17], v[24:25], v[16:17]
	scratch_load_b64 v[24:25], off, off offset:356 th:TH_LOAD_LU ; 8-byte Folded Reload
	v_add_f64_e64 v[26:27], v[26:27], -v[28:29]
	v_mul_f64_e32 v[28:29], s[18:19], v[198:199]
	s_delay_alu instid0(VALU_DEP_2) | instskip(NEXT) | instid1(VALU_DEP_2)
	v_add_f64_e32 v[18:19], v[26:27], v[18:19]
	v_add_f64_e32 v[28:29], v[30:31], v[28:29]
	v_mul_f64_e32 v[30:31], s[18:19], v[186:187]
	s_delay_alu instid0(VALU_DEP_2) | instskip(NEXT) | instid1(VALU_DEP_2)
	v_add_f64_e32 v[16:17], v[28:29], v[16:17]
	v_add_f64_e64 v[30:31], v[30:31], -v[32:33]
	s_wait_loadcnt 0x0
	v_add_f64_e64 v[22:23], v[22:23], -v[24:25]
	s_delay_alu instid0(VALU_DEP_2) | instskip(NEXT) | instid1(VALU_DEP_4)
	v_add_f64_e32 v[24:25], v[30:31], v[18:19]
	v_add_f64_e32 v[18:19], v[20:21], v[16:17]
	scratch_load_b64 v[20:21], off, off offset:228 th:TH_LOAD_LU ; 8-byte Folded Reload
	v_add_f64_e32 v[16:17], v[22:23], v[24:25]
	s_clause 0x1
	scratch_load_b64 v[24:25], off, off offset:244 th:TH_LOAD_LU
	scratch_load_b64 v[22:23], off, off offset:220 th:TH_LOAD_LU
	s_wait_loadcnt 0x2
	v_add_f64_e32 v[20:21], v[164:165], v[20:21]
	s_wait_loadcnt 0x1
	s_delay_alu instid0(VALU_DEP_1) | instskip(SKIP_4) | instid1(VALU_DEP_1)
	v_add_f64_e32 v[20:21], v[20:21], v[24:25]
	scratch_load_b64 v[24:25], off, off offset:236 th:TH_LOAD_LU ; 8-byte Folded Reload
	s_wait_loadcnt 0x1
	v_add_f64_e32 v[22:23], v[162:163], v[22:23]
	s_wait_loadcnt 0x0
	v_add_f64_e32 v[22:23], v[22:23], v[24:25]
	scratch_load_b64 v[24:25], off, off offset:292 th:TH_LOAD_LU ; 8-byte Folded Reload
	s_wait_loadcnt 0x0
	v_add_f64_e32 v[20:21], v[20:21], v[24:25]
	scratch_load_b64 v[24:25], off, off offset:284 th:TH_LOAD_LU ; 8-byte Folded Reload
	v_add_f64_e32 v[20:21], v[20:21], v[56:57]
	s_delay_alu instid0(VALU_DEP_1) | instskip(NEXT) | instid1(VALU_DEP_1)
	v_add_f64_e32 v[20:21], v[20:21], v[46:47]
	v_add_f64_e32 v[20:21], v[20:21], v[48:49]
	s_delay_alu instid0(VALU_DEP_1) | instskip(SKIP_4) | instid1(VALU_DEP_1)
	v_add_f64_e32 v[20:21], v[20:21], v[52:53]
	s_wait_loadcnt 0x0
	v_add_f64_e32 v[22:23], v[22:23], v[24:25]
	scratch_load_b64 v[24:25], off, off offset:276 th:TH_LOAD_LU ; 8-byte Folded Reload
	v_add_f64_e32 v[22:23], v[22:23], v[160:161]
	v_add_f64_e32 v[22:23], v[22:23], v[54:55]
	s_delay_alu instid0(VALU_DEP_1) | instskip(NEXT) | instid1(VALU_DEP_1)
	v_add_f64_e32 v[22:23], v[22:23], v[44:45]
	v_add_f64_e32 v[22:23], v[22:23], v[58:59]
	s_wait_loadcnt 0x0
	v_add_f64_e32 v[20:21], v[20:21], v[24:25]
	scratch_load_b64 v[24:25], off, off offset:268 th:TH_LOAD_LU ; 8-byte Folded Reload
	s_wait_loadcnt 0x0
	v_add_f64_e32 v[22:23], v[22:23], v[24:25]
	scratch_load_b64 v[24:25], off, off offset:260 th:TH_LOAD_LU ; 8-byte Folded Reload
	;; [unrolled: 3-line block ×7, first 2 shown]
	s_wait_loadcnt 0x0
	v_add_f64_e32 v[20:21], v[24:25], v[20:21]
	s_clause 0x1
	scratch_load_b32 v24, off, off offset:192
	scratch_load_b32 v25, off, off offset:188
	s_wait_loadcnt 0x1
	v_mul_u32_u24_e32 v24, 0x82, v24
	s_wait_loadcnt 0x0
	s_delay_alu instid0(VALU_DEP_1)
	v_add_lshl_u32 v24, v24, v25, 4
	ds_store_b128 v24, v[0:3] offset:320
	ds_store_b128 v24, v[4:7] offset:480
	;; [unrolled: 1-line block ×11, first 2 shown]
	ds_store_b128 v24, v[20:23]
	ds_store_b128 v24, v[140:143] offset:1920
.LBB0_5:
	s_wait_alu 0xfffe
	s_or_b32 exec_lo, exec_lo, s22
	global_wb scope:SCOPE_SE
	s_wait_dscnt 0x0
	s_barrier_signal -1
	s_barrier_wait -1
	global_inv scope:SCOPE_SE
	ds_load_b128 v[160:163], v255
	ds_load_b128 v[180:183], v255 offset:4160
	ds_load_b128 v[176:179], v255 offset:8320
	;; [unrolled: 1-line block ×6, first 2 shown]
	scratch_load_b32 v0, off, off           ; 4-byte Folded Reload
	v_add_co_u32 v192, s0, s8, v255
	s_wait_alu 0xf1ff
	v_add_co_ci_u32_e64 v193, null, s9, 0, s0
                                        ; implicit-def: $vgpr188_vgpr189
	s_wait_loadcnt 0x0
	v_cmp_gt_u16_e64 s0, 0x4e, v0
	s_delay_alu instid0(VALU_DEP_1)
	s_and_saveexec_b32 s1, s0
	s_cbranch_execz .LBB0_7
; %bb.6:
	ds_load_b128 v[136:139], v255 offset:2912
	ds_load_b128 v[156:159], v255 offset:7072
	;; [unrolled: 1-line block ×7, first 2 shown]
.LBB0_7:
	s_wait_alu 0xfffe
	s_or_b32 exec_lo, exec_lo, s1
	scratch_load_b32 v196, off, off         ; 4-byte Folded Reload
	s_mov_b32 s12, 0x37e14327
	s_mov_b32 s14, 0x36b3c0b5
	;; [unrolled: 1-line block ×12, first 2 shown]
	s_wait_alu 0xfffe
	s_mov_b32 s24, s22
	s_wait_loadcnt 0x0
	v_add_nc_u32_e32 v0, 0xb6, v196
	v_add_nc_u32_e32 v2, 0xffffff7e, v196
	v_cmp_gt_u16_e64 s1, 0x82, v196
	s_delay_alu instid0(VALU_DEP_3) | instskip(SKIP_1) | instid1(VALU_DEP_2)
	v_and_b32_e32 v1, 0xffff, v0
	s_wait_alu 0xf1ff
	v_cndmask_b32_e64 v39, v2, v196, s1
	s_delay_alu instid0(VALU_DEP_2) | instskip(NEXT) | instid1(VALU_DEP_2)
	v_mul_u32_u24_e32 v1, 0xfc1, v1
	v_mul_i32_i24_e32 v2, 0x60, v39
	v_mul_hi_i32_i24_e32 v3, 0x60, v39
	s_delay_alu instid0(VALU_DEP_3) | instskip(NEXT) | instid1(VALU_DEP_1)
	v_lshrrev_b32_e32 v1, 19, v1
	v_mul_lo_u16 v1, 0x82, v1
	s_delay_alu instid0(VALU_DEP_1) | instskip(SKIP_3) | instid1(VALU_DEP_3)
	v_sub_nc_u16 v16, v0, v1
	v_add_co_u32 v0, s1, s10, v2
	s_wait_alu 0xf1ff
	v_add_co_ci_u32_e64 v1, s1, s11, v3, s1
	v_mul_lo_u16 v2, 0x60, v16
	v_and_b32_e32 v16, 0xffff, v16
	s_clause 0x3
	global_load_b128 v[120:123], v[0:1], off offset:1920
	global_load_b128 v[116:119], v[0:1], off offset:1936
	global_load_b128 v[112:115], v[0:1], off offset:2000
	global_load_b128 v[108:111], v[0:1], off offset:1984
	v_and_b32_e32 v2, 0xffff, v2
	s_delay_alu instid0(VALU_DEP_1)
	v_add_co_u32 v2, s1, s10, v2
	s_wait_alu 0xf1ff
	v_add_co_ci_u32_e64 v3, null, s11, 0, s1
	v_cmp_lt_u16_e64 s1, 0x81, v196
	s_clause 0x7
	global_load_b128 v[44:47], v[2:3], off offset:1920
	global_load_b128 v[40:43], v[2:3], off offset:1936
	;; [unrolled: 1-line block ×8, first 2 shown]
	s_wait_loadcnt_dscnt 0xa04
	v_mul_f64_e32 v[4:5], v[178:179], v[118:119]
	v_mul_f64_e32 v[0:1], v[182:183], v[122:123]
	;; [unrolled: 1-line block ×4, first 2 shown]
	s_wait_loadcnt_dscnt 0x900
	v_mul_f64_e32 v[8:9], v[186:187], v[114:115]
	v_mul_f64_e32 v[10:11], v[184:185], v[114:115]
	s_wait_loadcnt 0x8
	v_mul_f64_e32 v[12:13], v[174:175], v[110:111]
	v_mul_f64_e32 v[14:15], v[172:173], v[110:111]
	s_wait_loadcnt 0x7
	;; [unrolled: 3-line block ×7, first 2 shown]
	v_mul_f64_e32 v[37:38], v[166:167], v[130:131]
	v_mul_f64_e32 v[194:195], v[164:165], v[130:131]
	v_fma_f64 v[4:5], v[176:177], v[116:117], -v[4:5]
	v_fma_f64 v[0:1], v[180:181], v[120:121], -v[0:1]
	v_fma_f64 v[2:3], v[182:183], v[120:121], v[2:3]
	v_fma_f64 v[6:7], v[178:179], v[116:117], v[6:7]
	v_fma_f64 v[8:9], v[184:185], v[112:113], -v[8:9]
	v_fma_f64 v[10:11], v[186:187], v[112:113], v[10:11]
	v_fma_f64 v[12:13], v[172:173], v[108:109], -v[12:13]
	v_fma_f64 v[14:15], v[174:175], v[108:109], v[14:15]
	s_wait_loadcnt 0x1
	v_mul_f64_e32 v[172:173], v[150:151], v[58:59]
	v_mul_f64_e32 v[174:175], v[148:149], v[58:59]
	s_wait_loadcnt 0x0
	v_mul_f64_e32 v[176:177], v[146:147], v[54:55]
	v_mul_f64_e32 v[178:179], v[144:145], v[54:55]
	v_fma_f64 v[17:18], v[156:157], v[44:45], -v[17:18]
	v_fma_f64 v[19:20], v[158:159], v[44:45], v[19:20]
	v_fma_f64 v[21:22], v[152:153], v[40:41], -v[21:22]
	v_fma_f64 v[23:24], v[154:155], v[40:41], v[23:24]
	;; [unrolled: 2-line block ×6, first 2 shown]
	v_add_f64_e32 v[142:143], v[0:1], v[8:9]
	v_add_f64_e32 v[152:153], v[2:3], v[10:11]
	v_add_f64_e32 v[154:155], v[4:5], v[12:13]
	v_add_f64_e32 v[156:157], v[6:7], v[14:15]
	v_fma_f64 v[148:149], v[148:149], v[56:57], -v[172:173]
	v_fma_f64 v[150:151], v[150:151], v[56:57], v[174:175]
	v_fma_f64 v[144:145], v[144:145], v[52:53], -v[176:177]
	v_fma_f64 v[146:147], v[146:147], v[52:53], v[178:179]
	v_add_f64_e64 v[4:5], v[4:5], -v[12:13]
	v_add_f64_e64 v[6:7], v[6:7], -v[14:15]
	v_add_f64_e64 v[0:1], v[0:1], -v[8:9]
	v_add_f64_e64 v[2:3], v[2:3], -v[10:11]
	v_add_f64_e32 v[158:159], v[17:18], v[25:26]
	v_add_f64_e32 v[164:165], v[19:20], v[27:28]
	;; [unrolled: 1-line block ×4, first 2 shown]
	v_add_f64_e64 v[21:22], v[21:22], -v[29:30]
	v_add_f64_e64 v[23:24], v[23:24], -v[31:32]
	v_add_f64_e32 v[12:13], v[33:34], v[37:38]
	v_add_f64_e32 v[14:15], v[35:36], v[140:141]
	v_add_f64_e64 v[33:34], v[37:38], -v[33:34]
	v_add_f64_e64 v[35:36], v[140:141], -v[35:36]
	;; [unrolled: 1-line block ×4, first 2 shown]
	v_add_f64_e32 v[8:9], v[154:155], v[142:143]
	v_add_f64_e32 v[10:11], v[156:157], v[152:153]
	;; [unrolled: 1-line block ×4, first 2 shown]
	v_add_f64_e64 v[37:38], v[144:145], -v[148:149]
	v_add_f64_e64 v[140:141], v[146:147], -v[150:151]
	;; [unrolled: 1-line block ×4, first 2 shown]
	v_add_f64_e32 v[144:145], v[166:167], v[158:159]
	v_add_f64_e32 v[146:147], v[168:169], v[164:165]
	v_add_f64_e64 v[17:18], v[142:143], -v[12:13]
	v_add_f64_e64 v[19:20], v[152:153], -v[14:15]
	;; [unrolled: 1-line block ×8, first 2 shown]
	v_add_f64_e32 v[4:5], v[33:34], v[4:5]
	v_add_f64_e32 v[6:7], v[35:36], v[6:7]
	v_add_f64_e64 v[33:34], v[0:1], -v[33:34]
	v_add_f64_e64 v[35:36], v[2:3], -v[35:36]
	v_add_f64_e32 v[8:9], v[12:13], v[8:9]
	v_add_f64_e32 v[10:11], v[14:15], v[10:11]
	v_add_f64_e64 v[12:13], v[12:13], -v[154:155]
	v_add_f64_e64 v[14:15], v[14:15], -v[156:157]
	;; [unrolled: 1-line block ×6, first 2 shown]
	v_add_f64_e32 v[21:22], v[37:38], v[21:22]
	v_add_f64_e32 v[23:24], v[140:141], v[23:24]
	v_add_f64_e64 v[37:38], v[25:26], -v[37:38]
	v_add_f64_e64 v[140:141], v[27:28], -v[140:141]
	v_add_f64_e32 v[144:145], v[29:30], v[144:145]
	v_add_f64_e32 v[146:147], v[31:32], v[146:147]
	v_add_f64_e64 v[29:30], v[158:159], -v[29:30]
	v_add_f64_e64 v[31:32], v[164:165], -v[31:32]
	v_mul_f64_e32 v[154:155], s[12:13], v[17:18]
	v_mul_f64_e32 v[156:157], s[12:13], v[19:20]
	;; [unrolled: 1-line block ×4, first 2 shown]
	v_add_f64_e64 v[158:159], v[166:167], -v[158:159]
	v_add_f64_e64 v[164:165], v[168:169], -v[164:165]
	v_mul_f64_e32 v[166:167], s[18:19], v[170:171]
	v_mul_f64_e32 v[168:169], s[18:19], v[172:173]
	;; [unrolled: 1-line block ×4, first 2 shown]
	v_add_f64_e32 v[0:1], v[4:5], v[0:1]
	v_add_f64_e32 v[2:3], v[6:7], v[2:3]
	;; [unrolled: 1-line block ×4, first 2 shown]
	v_mul_f64_e32 v[160:161], s[14:15], v[12:13]
	v_mul_f64_e32 v[162:163], s[14:15], v[14:15]
	;; [unrolled: 1-line block ×6, first 2 shown]
	s_mov_b32 s16, 0xaaaaaaaa
	s_mov_b32 s17, 0xbff2aaaa
	v_add_f64_e32 v[4:5], v[21:22], v[25:26]
	v_add_f64_e32 v[6:7], v[23:24], v[27:28]
	;; [unrolled: 1-line block ×4, first 2 shown]
	v_mul_f64_e32 v[29:30], s[12:13], v[29:30]
	v_mul_f64_e32 v[31:32], s[12:13], v[31:32]
	s_mov_b32 s12, 0x5476071b
	s_mov_b32 s13, 0x3fe77f67
	s_wait_alu 0xfffe
	s_mov_b32 s20, s12
	v_fma_f64 v[12:13], v[12:13], s[14:15], v[154:155]
	v_fma_f64 v[14:15], v[14:15], s[14:15], v[156:157]
	;; [unrolled: 1-line block ×4, first 2 shown]
	v_fma_f64 v[25:26], v[170:171], s[18:19], -v[148:149]
	v_fma_f64 v[27:28], v[172:173], s[18:19], -v[150:151]
	;; [unrolled: 1-line block ×4, first 2 shown]
	s_wait_alu 0xfffe
	v_fma_f64 v[148:149], v[142:143], s[20:21], -v[154:155]
	v_fma_f64 v[150:151], v[152:153], s[20:21], -v[156:157]
	v_fma_f64 v[8:9], v[8:9], s[16:17], v[17:18]
	v_fma_f64 v[10:11], v[10:11], s[16:17], v[19:20]
	v_fma_f64 v[142:143], v[142:143], s[12:13], -v[160:161]
	v_fma_f64 v[152:153], v[152:153], s[12:13], -v[162:163]
	v_fma_f64 v[154:155], v[158:159], s[12:13], -v[186:187]
	v_fma_f64 v[156:157], v[164:165], s[12:13], -v[188:189]
	v_fma_f64 v[160:161], v[37:38], s[22:23], v[178:179]
	v_fma_f64 v[162:163], v[140:141], s[22:23], v[180:181]
	v_fma_f64 v[166:167], v[182:183], s[18:19], -v[178:179]
	v_fma_f64 v[168:169], v[184:185], s[18:19], -v[180:181]
	;; [unrolled: 6-line block ×3, first 2 shown]
	v_fma_f64 v[29:30], v[174:175], s[14:15], v[29:30]
	v_fma_f64 v[31:32], v[176:177], s[14:15], v[31:32]
	s_mov_b32 s12, 0x37c3f68c
	s_mov_b32 s13, 0x3fdc38aa
	s_wait_alu 0xfffe
	v_fma_f64 v[170:171], v[0:1], s[12:13], v[21:22]
	v_fma_f64 v[172:173], v[2:3], s[12:13], v[23:24]
	;; [unrolled: 1-line block ×6, first 2 shown]
	v_add_f64_e32 v[182:183], v[12:13], v[8:9]
	v_add_f64_e32 v[184:185], v[14:15], v[10:11]
	;; [unrolled: 1-line block ×6, first 2 shown]
	v_fma_f64 v[2:3], v[4:5], s[12:13], v[160:161]
	v_fma_f64 v[0:1], v[6:7], s[12:13], v[162:163]
	;; [unrolled: 1-line block ×6, first 2 shown]
	v_add_f64_e32 v[154:155], v[154:155], v[144:145]
	v_add_f64_e32 v[156:157], v[156:157], v[146:147]
	;; [unrolled: 1-line block ×6, first 2 shown]
	v_cndmask_b32_e64 v37, 0, 0x38e, s1
	s_delay_alu instid0(VALU_DEP_1)
	v_add_lshl_u32 v214, v39, v37, 4
	v_add_f64_e32 v[21:22], v[172:173], v[182:183]
	v_add_f64_e64 v[23:24], v[184:185], -v[170:171]
	v_add_f64_e32 v[25:26], v[180:181], v[148:149]
	v_add_f64_e64 v[27:28], v[150:151], -v[178:179]
	v_add_f64_e64 v[140:141], v[148:149], -v[180:181]
	v_add_f64_e32 v[142:143], v[178:179], v[150:151]
	v_add_f64_e32 v[146:147], v[170:171], v[184:185]
	v_add_f64_e64 v[29:30], v[33:34], -v[176:177]
	v_add_f64_e32 v[31:32], v[174:175], v[35:36]
	v_add_f64_e32 v[33:34], v[176:177], v[33:34]
	v_add_f64_e64 v[35:36], v[35:36], -v[174:175]
	v_add_f64_e64 v[144:145], v[182:183], -v[172:173]
	;; [unrolled: 1-line block ×3, first 2 shown]
	v_add_f64_e32 v[162:163], v[152:153], v[156:157]
	v_add_f64_e32 v[164:165], v[166:167], v[154:155]
	v_add_f64_e64 v[166:167], v[156:157], -v[152:153]
	v_add_f64_e64 v[168:169], v[6:7], -v[4:5]
	v_add_f64_e32 v[170:171], v[12:13], v[14:15]
	v_add_f64_e64 v[148:149], v[8:9], -v[0:1]
	v_add_f64_e32 v[150:151], v[2:3], v[10:11]
	scratch_store_b128 off, v[148:151], off offset:4 ; 16-byte Folded Spill
	global_wb scope:SCOPE_SE
	s_wait_storecnt 0x0
	s_barrier_signal -1
	s_barrier_wait -1
	global_inv scope:SCOPE_SE
	ds_store_b128 v214, v[17:20]
	ds_store_b128 v214, v[21:24] offset:2080
	scratch_store_b32 off, v16, off offset:196 ; 4-byte Folded Spill
	ds_store_b128 v214, v[25:28] offset:4160
	ds_store_b128 v214, v[29:32] offset:6240
	;; [unrolled: 1-line block ×5, first 2 shown]
	s_and_saveexec_b32 s1, s0
	s_cbranch_execz .LBB0_9
; %bb.8:
	v_add_f64_e64 v[2:3], v[10:11], -v[2:3]
	v_add_f64_e32 v[10:11], v[4:5], v[6:7]
	scratch_load_b32 v4, off, off offset:196 ; 4-byte Folded Reload
	v_add_f64_e32 v[0:1], v[0:1], v[8:9]
	v_add_f64_e64 v[12:13], v[14:15], -v[12:13]
	s_wait_loadcnt 0x0
	v_lshlrev_b32_e32 v4, 4, v4
	ds_store_b128 v4, v[164:167] offset:22880
	ds_store_b128 v4, v[168:171] offset:24960
	;; [unrolled: 1-line block ×6, first 2 shown]
	scratch_load_b128 v[0:3], off, off offset:4 ; 16-byte Folded Reload
	s_wait_loadcnt 0x0
	ds_store_b128 v4, v[0:3] offset:27040
.LBB0_9:
	s_wait_alu 0xfffe
	s_or_b32 exec_lo, exec_lo, s1
	global_wb scope:SCOPE_SE
	s_wait_storecnt_dscnt 0x0
	s_barrier_signal -1
	s_barrier_wait -1
	global_inv scope:SCOPE_SE
	s_clause 0x3
	global_load_b128 v[136:139], v255, s[10:11] offset:14400
	global_load_b128 v[140:143], v255, s[10:11] offset:17312
	;; [unrolled: 1-line block ×4, first 2 shown]
	ds_load_b128 v[0:3], v255 offset:14560
	ds_load_b128 v[4:7], v255 offset:11648
	ds_load_b128 v[8:11], v255 offset:17472
	ds_load_b128 v[12:15], v255 offset:20384
	global_load_b128 v[156:159], v255, s[10:11] offset:26048
	s_add_nc_u64 s[8:9], s[8:9], 0x71c0
	s_mov_b32 s11, 0x3fee6f0e
	s_mov_b32 s12, 0x4755a5e
	;; [unrolled: 1-line block ×4, first 2 shown]
	s_wait_alu 0xfffe
	s_mov_b32 s14, s12
	s_mov_b32 s16, 0x372fe950
	;; [unrolled: 1-line block ×6, first 2 shown]
	s_wait_alu 0xfffe
	s_mov_b32 s20, s16
	s_wait_loadcnt_dscnt 0x403
	v_mul_f64_e32 v[16:17], v[2:3], v[138:139]
	v_mul_f64_e32 v[18:19], v[0:1], v[138:139]
	s_wait_loadcnt_dscnt 0x301
	v_mul_f64_e32 v[20:21], v[10:11], v[142:143]
	v_mul_f64_e32 v[22:23], v[8:9], v[142:143]
	;; [unrolled: 3-line block ×3, first 2 shown]
	v_fma_f64 v[16:17], v[0:1], v[136:137], -v[16:17]
	v_fma_f64 v[18:19], v[2:3], v[136:137], v[18:19]
	ds_load_b128 v[0:3], v255 offset:23296
	v_fma_f64 v[20:21], v[8:9], v[140:141], -v[20:21]
	v_fma_f64 v[22:23], v[10:11], v[140:141], v[22:23]
	ds_load_b128 v[8:11], v255 offset:26208
	v_fma_f64 v[28:29], v[12:13], v[144:145], -v[24:25]
	v_fma_f64 v[30:31], v[14:15], v[144:145], v[26:27]
	s_wait_loadcnt_dscnt 0x101
	v_mul_f64_e32 v[12:13], v[2:3], v[150:151]
	s_delay_alu instid0(VALU_DEP_1) | instskip(SKIP_1) | instid1(VALU_DEP_1)
	v_fma_f64 v[32:33], v[0:1], v[148:149], -v[12:13]
	v_mul_f64_e32 v[0:1], v[0:1], v[150:151]
	v_fma_f64 v[34:35], v[2:3], v[148:149], v[0:1]
	s_wait_loadcnt_dscnt 0x0
	v_mul_f64_e32 v[0:1], v[10:11], v[158:159]
	s_delay_alu instid0(VALU_DEP_1) | instskip(SKIP_1) | instid1(VALU_DEP_2)
	v_fma_f64 v[36:37], v[8:9], v[156:157], -v[0:1]
	v_mul_f64_e32 v[0:1], v[8:9], v[158:159]
	v_add_f64_e64 v[36:37], v[4:5], -v[36:37]
	s_delay_alu instid0(VALU_DEP_2)
	v_fma_f64 v[38:39], v[10:11], v[156:157], v[0:1]
	ds_load_b128 v[0:3], v255
	ds_load_b128 v[8:11], v255 offset:2912
	s_wait_dscnt 0x1
	v_add_f64_e64 v[12:13], v[0:1], -v[16:17]
	v_add_f64_e64 v[14:15], v[2:3], -v[18:19]
	s_wait_dscnt 0x0
	v_add_f64_e64 v[16:17], v[8:9], -v[20:21]
	v_add_f64_e64 v[18:19], v[10:11], -v[22:23]
	ds_load_b128 v[20:23], v255 offset:5824
	ds_load_b128 v[24:27], v255 offset:8736
	v_fma_f64 v[4:5], v[4:5], 2.0, -v[36:37]
	v_add_f64_e64 v[38:39], v[6:7], -v[38:39]
	s_wait_dscnt 0x1
	v_add_f64_e64 v[28:29], v[20:21], -v[28:29]
	v_add_f64_e64 v[30:31], v[22:23], -v[30:31]
	s_wait_dscnt 0x0
	v_add_f64_e64 v[32:33], v[24:25], -v[32:33]
	v_add_f64_e64 v[34:35], v[26:27], -v[34:35]
	v_fma_f64 v[0:1], v[0:1], 2.0, -v[12:13]
	v_fma_f64 v[2:3], v[2:3], 2.0, -v[14:15]
	;; [unrolled: 1-line block ×9, first 2 shown]
	ds_store_b128 v255, v[16:19] offset:17472
	ds_store_b128 v255, v[28:31] offset:20384
	;; [unrolled: 1-line block ×4, first 2 shown]
	ds_store_b128 v255, v[0:3]
	ds_store_b128 v255, v[8:11] offset:2912
	ds_store_b128 v255, v[20:23] offset:5824
	ds_store_b128 v255, v[24:27] offset:8736
	ds_store_b128 v255, v[12:15] offset:14560
	ds_store_b128 v255, v[4:7] offset:11648
	global_wb scope:SCOPE_SE
	s_wait_dscnt 0x0
	s_barrier_signal -1
	s_barrier_wait -1
	global_inv scope:SCOPE_SE
	s_clause 0x1
	global_load_b128 v[0:3], v[192:193], off offset:29120
	global_load_b128 v[4:7], v255, s[8:9] offset:2912
	ds_load_b128 v[8:11], v255
	ds_load_b128 v[12:15], v255 offset:2912
	s_wait_loadcnt_dscnt 0x101
	v_mul_f64_e32 v[16:17], v[10:11], v[2:3]
	v_mul_f64_e32 v[2:3], v[8:9], v[2:3]
	s_delay_alu instid0(VALU_DEP_2) | instskip(NEXT) | instid1(VALU_DEP_2)
	v_fma_f64 v[8:9], v[8:9], v[0:1], -v[16:17]
	v_fma_f64 v[10:11], v[10:11], v[0:1], v[2:3]
	global_load_b128 v[0:3], v255, s[8:9] offset:5824
	s_wait_loadcnt_dscnt 0x100
	v_mul_f64_e32 v[16:17], v[14:15], v[6:7]
	v_mul_f64_e32 v[6:7], v[12:13], v[6:7]
	s_delay_alu instid0(VALU_DEP_2) | instskip(NEXT) | instid1(VALU_DEP_2)
	v_fma_f64 v[12:13], v[12:13], v[4:5], -v[16:17]
	v_fma_f64 v[14:15], v[14:15], v[4:5], v[6:7]
	ds_load_b128 v[4:7], v255 offset:5824
	ds_load_b128 v[16:19], v255 offset:8736
	s_wait_loadcnt_dscnt 0x1
	v_mul_f64_e32 v[20:21], v[6:7], v[2:3]
	v_mul_f64_e32 v[22:23], v[4:5], v[2:3]
	s_delay_alu instid0(VALU_DEP_2) | instskip(NEXT) | instid1(VALU_DEP_2)
	v_fma_f64 v[2:3], v[4:5], v[0:1], -v[20:21]
	v_fma_f64 v[4:5], v[6:7], v[0:1], v[22:23]
	s_clause 0x1
	global_load_b128 v[20:23], v255, s[8:9] offset:8736
	global_load_b128 v[24:27], v255, s[8:9] offset:11648
	s_wait_loadcnt_dscnt 0x100
	v_mul_f64_e32 v[0:1], v[18:19], v[22:23]
	v_mul_f64_e32 v[6:7], v[16:17], v[22:23]
	s_delay_alu instid0(VALU_DEP_2) | instskip(NEXT) | instid1(VALU_DEP_2)
	v_fma_f64 v[16:17], v[16:17], v[20:21], -v[0:1]
	v_fma_f64 v[18:19], v[18:19], v[20:21], v[6:7]
	ds_load_b128 v[20:23], v255 offset:11648
	ds_load_b128 v[28:31], v255 offset:14560
	s_wait_loadcnt_dscnt 0x1
	v_mul_f64_e32 v[0:1], v[22:23], v[26:27]
	v_mul_f64_e32 v[6:7], v[20:21], v[26:27]
	s_delay_alu instid0(VALU_DEP_2) | instskip(NEXT) | instid1(VALU_DEP_2)
	v_fma_f64 v[20:21], v[20:21], v[24:25], -v[0:1]
	v_fma_f64 v[22:23], v[22:23], v[24:25], v[6:7]
	s_clause 0x1
	global_load_b128 v[24:27], v255, s[8:9] offset:14560
	global_load_b128 v[32:35], v255, s[8:9] offset:17472
	ds_load_b128 v[36:39], v255 offset:17472
	ds_load_b128 v[172:175], v255 offset:20384
	s_wait_loadcnt_dscnt 0x102
	v_mul_f64_e32 v[0:1], v[30:31], v[26:27]
	v_mul_f64_e32 v[6:7], v[28:29], v[26:27]
	s_delay_alu instid0(VALU_DEP_2) | instskip(SKIP_2) | instid1(VALU_DEP_3)
	v_fma_f64 v[26:27], v[28:29], v[24:25], -v[0:1]
	s_wait_loadcnt_dscnt 0x1
	v_mul_f64_e32 v[0:1], v[38:39], v[34:35]
	v_fma_f64 v[28:29], v[30:31], v[24:25], v[6:7]
	v_mul_f64_e32 v[6:7], v[36:37], v[34:35]
	s_delay_alu instid0(VALU_DEP_3)
	v_fma_f64 v[30:31], v[36:37], v[32:33], -v[0:1]
	s_clause 0x1
	global_load_b128 v[34:37], v255, s[8:9] offset:20384
	global_load_b128 v[176:179], v255, s[8:9] offset:23296
	v_fma_f64 v[32:33], v[38:39], v[32:33], v[6:7]
	s_wait_loadcnt_dscnt 0x100
	v_mul_f64_e32 v[0:1], v[174:175], v[36:37]
	v_mul_f64_e32 v[6:7], v[172:173], v[36:37]
	s_delay_alu instid0(VALU_DEP_2) | instskip(NEXT) | instid1(VALU_DEP_2)
	v_fma_f64 v[36:37], v[172:173], v[34:35], -v[0:1]
	v_fma_f64 v[38:39], v[174:175], v[34:35], v[6:7]
	ds_load_b128 v[172:175], v255 offset:23296
	ds_load_b128 v[180:183], v255 offset:26208
	s_wait_loadcnt_dscnt 0x1
	v_mul_f64_e32 v[0:1], v[174:175], v[178:179]
	v_mul_f64_e32 v[6:7], v[172:173], v[178:179]
	s_delay_alu instid0(VALU_DEP_2) | instskip(NEXT) | instid1(VALU_DEP_2)
	v_fma_f64 v[172:173], v[172:173], v[176:177], -v[0:1]
	v_fma_f64 v[174:175], v[174:175], v[176:177], v[6:7]
	global_load_b128 v[176:179], v255, s[8:9] offset:26208
	s_mov_b32 s8, 0x134454ff
	s_mov_b32 s9, 0xbfee6f0e
	s_wait_alu 0xfffe
	s_mov_b32 s10, s8
	s_wait_loadcnt_dscnt 0x0
	v_mul_f64_e32 v[0:1], v[182:183], v[178:179]
	v_mul_f64_e32 v[6:7], v[180:181], v[178:179]
	s_delay_alu instid0(VALU_DEP_2) | instskip(NEXT) | instid1(VALU_DEP_2)
	v_fma_f64 v[178:179], v[180:181], v[176:177], -v[0:1]
	v_fma_f64 v[180:181], v[182:183], v[176:177], v[6:7]
	ds_store_b128 v255, v[8:11]
	ds_store_b128 v255, v[12:15] offset:2912
	ds_store_b128 v255, v[2:5] offset:5824
	;; [unrolled: 1-line block ×9, first 2 shown]
	global_wb scope:SCOPE_SE
	s_wait_dscnt 0x0
	s_barrier_signal -1
	s_barrier_wait -1
	global_inv scope:SCOPE_SE
	ds_load_b128 v[0:3], v255
	ds_load_b128 v[4:7], v255 offset:5824
	ds_load_b128 v[8:11], v255 offset:23296
	;; [unrolled: 1-line block ×7, first 2 shown]
	s_wait_dscnt 0x6
	v_add_f64_e32 v[32:33], v[0:1], v[4:5]
	v_add_f64_e32 v[34:35], v[2:3], v[6:7]
	s_wait_dscnt 0x5
	v_add_f64_e32 v[36:37], v[4:5], v[8:9]
	v_add_f64_e32 v[38:39], v[6:7], v[10:11]
	v_add_f64_e64 v[192:193], v[6:7], -v[10:11]
	v_add_f64_e64 v[194:195], v[4:5], -v[8:9]
	s_wait_dscnt 0x1
	v_add_f64_e64 v[176:177], v[4:5], -v[24:25]
	v_add_f64_e64 v[184:185], v[24:25], -v[4:5]
	;; [unrolled: 1-line block ×5, first 2 shown]
	v_add_f64_e32 v[196:197], v[14:15], v[22:23]
	v_add_f64_e32 v[198:199], v[12:13], v[20:21]
	v_add_f64_e64 v[202:203], v[14:15], -v[22:23]
	s_wait_dscnt 0x0
	v_add_f64_e64 v[204:205], v[12:13], -v[28:29]
	v_add_f64_e64 v[206:207], v[14:15], -v[30:31]
	v_add_f64_e32 v[172:173], v[32:33], v[24:25]
	v_add_f64_e32 v[174:175], v[34:35], v[26:27]
	ds_load_b128 v[4:7], v255 offset:17472
	ds_load_b128 v[32:35], v255 offset:20384
	global_wb scope:SCOPE_SE
	s_wait_dscnt 0x0
	s_barrier_signal -1
	s_barrier_wait -1
	global_inv scope:SCOPE_SE
	v_add_f64_e32 v[180:181], v[24:25], v[4:5]
	v_add_f64_e32 v[182:183], v[26:27], v[6:7]
	v_add_f64_e64 v[26:27], v[26:27], -v[6:7]
	v_add_f64_e64 v[24:25], v[24:25], -v[4:5]
	;; [unrolled: 1-line block ×4, first 2 shown]
	v_add_f64_e32 v[208:209], v[30:31], v[34:35]
	v_add_f64_e32 v[210:211], v[28:29], v[32:33]
	v_add_f64_e64 v[215:216], v[20:21], -v[32:33]
	v_add_f64_e64 v[217:218], v[22:23], -v[34:35]
	v_add_f64_e32 v[172:173], v[172:173], v[4:5]
	v_add_f64_e32 v[174:175], v[174:175], v[6:7]
	v_add_f64_e64 v[4:5], v[4:5], -v[8:9]
	v_add_f64_e64 v[6:7], v[6:7], -v[10:11]
	v_fma_f64 v[223:224], v[180:181], -0.5, v[0:1]
	v_fma_f64 v[0:1], v[36:37], -0.5, v[0:1]
	;; [unrolled: 1-line block ×6, first 2 shown]
	v_add_f64_e32 v[8:9], v[172:173], v[8:9]
	v_add_f64_e32 v[10:11], v[174:175], v[10:11]
	;; [unrolled: 1-line block ×4, first 2 shown]
	v_add_f64_e64 v[14:15], v[30:31], -v[14:15]
	v_add_f64_e64 v[12:13], v[28:29], -v[12:13]
	v_fma_f64 v[18:19], v[196:197], -0.5, v[18:19]
	v_fma_f64 v[16:17], v[198:199], -0.5, v[16:17]
	v_add_f64_e32 v[4:5], v[184:185], v[4:5]
	v_add_f64_e32 v[6:7], v[186:187], v[6:7]
	v_fma_f64 v[184:185], v[24:25], s[8:9], v[2:3]
	s_wait_alu 0xfffe
	v_fma_f64 v[2:3], v[24:25], s[10:11], v[2:3]
	v_fma_f64 v[38:39], v[200:201], s[10:11], v[219:220]
	v_add_f64_e32 v[172:173], v[172:173], v[28:29]
	v_add_f64_e32 v[174:175], v[174:175], v[30:31]
	v_add_f64_e64 v[28:29], v[28:29], -v[32:33]
	v_add_f64_e64 v[30:31], v[30:31], -v[34:35]
	v_fma_f64 v[184:185], v[194:195], s[14:15], v[184:185]
	v_fma_f64 v[2:3], v[194:195], s[12:13], v[2:3]
	v_add_f64_e32 v[172:173], v[172:173], v[32:33]
	v_add_f64_e32 v[174:175], v[174:175], v[34:35]
	v_add_f64_e64 v[34:35], v[34:35], -v[22:23]
	v_add_f64_e64 v[32:33], v[32:33], -v[20:21]
	v_fma_f64 v[38:39], v[28:29], s[14:15], v[38:39]
	v_fma_f64 v[186:187], v[6:7], s[16:17], v[184:185]
	;; [unrolled: 1-line block ×3, first 2 shown]
	v_add_f64_e32 v[20:21], v[172:173], v[20:21]
	v_add_f64_e32 v[22:23], v[174:175], v[22:23]
	;; [unrolled: 1-line block ×4, first 2 shown]
	v_fma_f64 v[32:33], v[28:29], s[8:9], v[18:19]
	v_fma_f64 v[34:35], v[30:31], s[10:11], v[16:17]
	;; [unrolled: 1-line block ×4, first 2 shown]
	v_add_f64_e32 v[172:173], v[8:9], v[20:21]
	v_add_f64_e32 v[174:175], v[10:11], v[22:23]
	v_add_f64_e64 v[180:181], v[8:9], -v[20:21]
	v_add_f64_e64 v[182:183], v[10:11], -v[22:23]
	v_add_f64_e32 v[10:11], v[206:207], v[217:218]
	v_add_f64_e32 v[20:21], v[176:177], v[188:189]
	v_fma_f64 v[176:177], v[202:203], s[8:9], v[221:222]
	v_add_f64_e32 v[8:9], v[204:205], v[215:216]
	v_add_f64_e32 v[22:23], v[178:179], v[190:191]
	v_fma_f64 v[188:189], v[194:195], s[10:11], v[36:37]
	v_fma_f64 v[32:33], v[200:201], s[14:15], v[32:33]
	;; [unrolled: 1-line block ×12, first 2 shown]
	v_mul_f64_e32 v[178:179], s[12:13], v[38:39]
	v_fma_f64 v[176:177], v[8:9], s[16:17], v[176:177]
	v_fma_f64 v[188:189], v[22:23], s[16:17], v[188:189]
	v_mul_f64_e32 v[6:7], s[20:21], v[14:15]
	s_delay_alu instid0(VALU_DEP_3) | instskip(SKIP_1) | instid1(VALU_DEP_3)
	v_fma_f64 v[178:179], v[176:177], s[18:19], v[178:179]
	v_mul_f64_e32 v[176:177], s[14:15], v[176:177]
	v_fma_f64 v[6:7], v[12:13], s[10:11], v[6:7]
	s_delay_alu instid0(VALU_DEP_2) | instskip(SKIP_2) | instid1(VALU_DEP_3)
	v_fma_f64 v[38:39], v[38:39], s[18:19], v[176:177]
	v_fma_f64 v[176:177], v[192:193], s[8:9], v[223:224]
	s_mov_b32 s19, 0xbfe9e377
	v_add_f64_e32 v[198:199], v[2:3], v[6:7]
	v_add_f64_e64 v[190:191], v[2:3], -v[6:7]
	v_fma_f64 v[2:3], v[202:203], s[10:11], v[221:222]
	v_fma_f64 v[6:7], v[194:195], s[8:9], v[36:37]
	v_add_f64_e32 v[206:207], v[188:189], v[38:39]
	v_fma_f64 v[176:177], v[26:27], s[12:13], v[176:177]
	s_delay_alu instid0(VALU_DEP_4) | instskip(NEXT) | instid1(VALU_DEP_4)
	v_fma_f64 v[2:3], v[30:31], s[14:15], v[2:3]
	v_fma_f64 v[6:7], v[24:25], s[12:13], v[6:7]
	s_delay_alu instid0(VALU_DEP_3) | instskip(NEXT) | instid1(VALU_DEP_3)
	v_fma_f64 v[176:177], v[20:21], s[16:17], v[176:177]
	v_fma_f64 v[2:3], v[8:9], s[16:17], v[2:3]
	s_delay_alu instid0(VALU_DEP_3) | instskip(NEXT) | instid1(VALU_DEP_3)
	v_fma_f64 v[6:7], v[22:23], s[16:17], v[6:7]
	v_add_f64_e32 v[204:205], v[176:177], v[178:179]
	v_add_f64_e64 v[176:177], v[176:177], -v[178:179]
	v_add_f64_e64 v[178:179], v[188:189], -v[38:39]
	v_mul_f64_e32 v[38:39], s[8:9], v[32:33]
	v_mul_f64_e32 v[32:33], s[16:17], v[32:33]
	s_delay_alu instid0(VALU_DEP_2) | instskip(NEXT) | instid1(VALU_DEP_2)
	v_fma_f64 v[38:39], v[34:35], s[16:17], v[38:39]
	v_fma_f64 v[32:33], v[34:35], s[10:11], v[32:33]
	;; [unrolled: 1-line block ×4, first 2 shown]
	s_delay_alu instid0(VALU_DEP_3) | instskip(NEXT) | instid1(VALU_DEP_3)
	v_add_f64_e32 v[210:211], v[186:187], v[32:33]
	v_fma_f64 v[34:35], v[192:193], s[12:13], v[34:35]
	s_delay_alu instid0(VALU_DEP_3) | instskip(SKIP_1) | instid1(VALU_DEP_3)
	v_fma_f64 v[0:1], v[192:193], s[14:15], v[0:1]
	v_add_f64_e64 v[186:187], v[186:187], -v[32:33]
	v_fma_f64 v[34:35], v[4:5], s[16:17], v[34:35]
	s_delay_alu instid0(VALU_DEP_3) | instskip(SKIP_1) | instid1(VALU_DEP_3)
	v_fma_f64 v[0:1], v[4:5], s[16:17], v[0:1]
	v_mul_f64_e32 v[4:5], s[8:9], v[14:15]
	v_add_f64_e32 v[208:209], v[34:35], v[38:39]
	v_add_f64_e64 v[184:185], v[34:35], -v[38:39]
	s_delay_alu instid0(VALU_DEP_3) | instskip(NEXT) | instid1(VALU_DEP_1)
	v_fma_f64 v[4:5], v[12:13], s[20:21], v[4:5]
	v_add_f64_e32 v[196:197], v[0:1], v[4:5]
	v_add_f64_e64 v[188:189], v[0:1], -v[4:5]
	v_fma_f64 v[0:1], v[200:201], s[8:9], v[219:220]
	v_fma_f64 v[4:5], v[192:193], s[10:11], v[223:224]
	s_delay_alu instid0(VALU_DEP_2) | instskip(NEXT) | instid1(VALU_DEP_2)
	v_fma_f64 v[0:1], v[28:29], s[12:13], v[0:1]
	v_fma_f64 v[4:5], v[26:27], s[14:15], v[4:5]
	s_delay_alu instid0(VALU_DEP_2) | instskip(NEXT) | instid1(VALU_DEP_2)
	v_fma_f64 v[0:1], v[10:11], s[16:17], v[0:1]
	v_fma_f64 v[4:5], v[20:21], s[16:17], v[4:5]
	s_delay_alu instid0(VALU_DEP_2) | instskip(SKIP_2) | instid1(VALU_DEP_2)
	v_mul_f64_e32 v[8:9], s[12:13], v[0:1]
	s_wait_alu 0xfffe
	v_mul_f64_e32 v[0:1], s[18:19], v[0:1]
	v_fma_f64 v[8:9], v[2:3], s[18:19], v[8:9]
	s_delay_alu instid0(VALU_DEP_2) | instskip(NEXT) | instid1(VALU_DEP_2)
	v_fma_f64 v[0:1], v[2:3], s[14:15], v[0:1]
	v_add_f64_e32 v[192:193], v[4:5], v[8:9]
	s_delay_alu instid0(VALU_DEP_2)
	v_add_f64_e32 v[194:195], v[6:7], v[0:1]
	v_add_f64_e64 v[200:201], v[4:5], -v[8:9]
	v_add_f64_e64 v[202:203], v[6:7], -v[0:1]
	ds_store_b128 v212, v[172:175]
	ds_store_b128 v212, v[204:207] offset:16
	ds_store_b128 v212, v[208:211] offset:32
	;; [unrolled: 1-line block ×9, first 2 shown]
	global_wb scope:SCOPE_SE
	s_wait_dscnt 0x0
	s_barrier_signal -1
	s_barrier_wait -1
	global_inv scope:SCOPE_SE
	s_and_saveexec_b32 s1, vcc_lo
	s_cbranch_execz .LBB0_11
; %bb.10:
	ds_load_b128 v[172:175], v255
	ds_load_b128 v[204:207], v255 offset:2240
	ds_load_b128 v[208:211], v255 offset:4480
	;; [unrolled: 1-line block ×12, first 2 shown]
.LBB0_11:
	s_wait_alu 0xfffe
	s_or_b32 exec_lo, exec_lo, s1
	s_wait_dscnt 0xb
	v_mul_f64_e32 v[0:1], v[70:71], v[204:205]
	s_mov_b32 s38, 0x4267c47c
	s_mov_b32 s39, 0xbfddbe06
	;; [unrolled: 1-line block ×25, first 2 shown]
	s_wait_alu 0xfffe
	s_mov_b32 s36, s24
	s_mov_b32 s35, 0x3fefc445
	;; [unrolled: 1-line block ×10, first 2 shown]
	s_delay_alu instid0(VALU_DEP_1) | instskip(SKIP_1) | instid1(VALU_DEP_1)
	v_fma_f64 v[152:153], v[68:69], v[206:207], -v[0:1]
	v_mul_f64_e32 v[0:1], v[70:71], v[206:207]
	v_fma_f64 v[68:69], v[68:69], v[204:205], v[0:1]
	s_wait_dscnt 0x0
	v_mul_f64_e32 v[0:1], v[126:127], v[168:169]
	s_delay_alu instid0(VALU_DEP_1) | instskip(SKIP_1) | instid1(VALU_DEP_1)
	v_fma_f64 v[4:5], v[124:125], v[170:171], -v[0:1]
	v_mul_f64_e32 v[0:1], v[126:127], v[170:171]
	v_fma_f64 v[6:7], v[124:125], v[168:169], v[0:1]
	v_mul_f64_e32 v[0:1], v[102:103], v[208:209]
	s_delay_alu instid0(VALU_DEP_2) | instskip(NEXT) | instid1(VALU_DEP_2)
	v_add_f64_e32 v[231:232], v[68:69], v[6:7]
	v_fma_f64 v[8:9], v[100:101], v[210:211], -v[0:1]
	v_mul_f64_e32 v[0:1], v[102:103], v[210:211]
	v_add_f64_e64 v[239:240], v[68:69], -v[6:7]
	s_delay_alu instid0(VALU_DEP_2) | instskip(SKIP_1) | instid1(VALU_DEP_1)
	v_fma_f64 v[14:15], v[100:101], v[208:209], v[0:1]
	v_mul_f64_e32 v[0:1], v[106:107], v[164:165]
	v_fma_f64 v[10:11], v[104:105], v[166:167], -v[0:1]
	v_mul_f64_e32 v[0:1], v[106:107], v[166:167]
	s_delay_alu instid0(VALU_DEP_1) | instskip(SKIP_1) | instid1(VALU_DEP_1)
	v_fma_f64 v[12:13], v[104:105], v[164:165], v[0:1]
	v_mul_f64_e32 v[0:1], v[82:83], v[196:197]
	v_fma_f64 v[16:17], v[80:81], v[198:199], -v[0:1]
	v_mul_f64_e32 v[0:1], v[82:83], v[198:199]
	s_delay_alu instid0(VALU_DEP_1) | instskip(SKIP_1) | instid1(VALU_DEP_1)
	v_fma_f64 v[22:23], v[80:81], v[196:197], v[0:1]
	v_mul_f64_e32 v[0:1], v[86:87], v[160:161]
	v_fma_f64 v[18:19], v[84:85], v[162:163], -v[0:1]
	v_mul_f64_e32 v[0:1], v[86:87], v[162:163]
	v_add_f64_e32 v[162:163], v[8:9], v[10:11]
	s_delay_alu instid0(VALU_DEP_3) | instskip(NEXT) | instid1(VALU_DEP_3)
	v_add_f64_e64 v[164:165], v[16:17], -v[18:19]
	v_fma_f64 v[20:21], v[84:85], v[160:161], v[0:1]
	v_mul_f64_e32 v[0:1], v[66:67], v[192:193]
	v_add_f64_e32 v[166:167], v[16:17], v[18:19]
	v_mul_f64_e32 v[241:242], s[18:19], v[162:163]
	v_mul_f64_e32 v[235:236], s[28:29], v[164:165]
	v_add_f64_e64 v[196:197], v[22:23], -v[20:21]
	v_fma_f64 v[24:25], v[64:65], v[194:195], -v[0:1]
	v_mul_f64_e32 v[0:1], v[66:67], v[194:195]
	v_mul_f64_e32 v[245:246], s[26:27], v[166:167]
	;; [unrolled: 1-line block ×5, first 2 shown]
	v_fma_f64 v[30:31], v[64:65], v[192:193], v[0:1]
	v_mul_f64_e32 v[0:1], v[94:95], v[200:201]
	v_add_f64_e32 v[192:193], v[22:23], v[20:21]
	s_delay_alu instid0(VALU_DEP_2) | instskip(SKIP_1) | instid1(VALU_DEP_2)
	v_fma_f64 v[26:27], v[92:93], v[202:203], -v[0:1]
	v_mul_f64_e32 v[0:1], v[94:95], v[202:203]
	v_add_f64_e64 v[170:171], v[24:25], -v[26:27]
	s_delay_alu instid0(VALU_DEP_2) | instskip(SKIP_3) | instid1(VALU_DEP_4)
	v_fma_f64 v[28:29], v[92:93], v[200:201], v[0:1]
	v_mul_f64_e32 v[0:1], v[78:79], v[180:181]
	v_add_f64_e32 v[210:211], v[24:25], v[26:27]
	s_wait_alu 0xfffe
	v_mul_f64_e32 v[243:244], s[36:37], v[170:171]
	s_delay_alu instid0(VALU_DEP_4) | instskip(NEXT) | instid1(VALU_DEP_4)
	v_add_f64_e32 v[200:201], v[30:31], v[28:29]
	v_fma_f64 v[32:33], v[76:77], v[182:183], -v[0:1]
	v_mul_f64_e32 v[0:1], v[78:79], v[182:183]
	v_add_f64_e64 v[78:79], v[8:9], -v[10:11]
	v_add_f64_e64 v[215:216], v[30:31], -v[28:29]
	v_mul_f64_e32 v[253:254], s[22:23], v[210:211]
	v_mul_f64_e32 v[102:103], s[26:27], v[210:211]
	;; [unrolled: 1-line block ×3, first 2 shown]
	v_fma_f64 v[38:39], v[76:77], v[180:181], v[0:1]
	v_mul_f64_e32 v[0:1], v[98:99], v[188:189]
	v_add_f64_e64 v[76:77], v[152:153], -v[4:5]
	v_mul_f64_e32 v[2:3], s[10:11], v[78:79]
	v_mul_f64_e32 v[233:234], s[20:21], v[78:79]
	;; [unrolled: 1-line block ×3, first 2 shown]
	v_fma_f64 v[34:35], v[96:97], v[190:191], -v[0:1]
	v_mul_f64_e32 v[0:1], v[98:99], v[190:191]
	v_mul_f64_e32 v[229:230], s[38:39], v[76:77]
	s_clause 0x8
	scratch_store_b64 off, v[2:3], off offset:380
	scratch_store_b64 off, v[4:5], off offset:204
	;; [unrolled: 1-line block ×9, first 2 shown]
	v_mul_f64_e32 v[198:199], s[10:11], v[76:77]
	v_mul_f64_e32 v[160:161], s[16:17], v[76:77]
	;; [unrolled: 1-line block ×6, first 2 shown]
	v_add_f64_e64 v[217:218], v[32:33], -v[34:35]
	v_fma_f64 v[36:37], v[96:97], v[188:189], v[0:1]
	v_mul_f64_e32 v[0:1], v[74:75], v[176:177]
	v_add_f64_e32 v[96:97], v[152:153], v[4:5]
	v_add_f64_e64 v[188:189], v[14:15], -v[12:13]
	v_mul_f64_e32 v[4:5], s[8:9], v[162:163]
	v_add_f64_e32 v[152:153], v[32:33], v[34:35]
	v_fma_f64 v[76:77], v[231:232], s[26:27], -v[212:213]
	v_mul_f64_e32 v[249:250], s[34:35], v[217:218]
	v_add_f64_e32 v[208:209], v[38:39], v[36:37]
	v_fma_f64 v[66:67], v[72:73], v[178:179], -v[0:1]
	v_mul_f64_e32 v[0:1], v[74:75], v[178:179]
	v_mul_f64_e32 v[237:238], s[12:13], v[96:97]
	scratch_store_b64 off, v[4:5], off offset:388 ; 8-byte Folded Spill
	v_fma_f64 v[4:5], v[188:189], s[10:11], v[4:5]
	v_add_f64_e64 v[223:224], v[38:39], -v[36:37]
	v_mul_f64_e32 v[106:107], s[8:9], v[96:97]
	v_mul_f64_e32 v[202:203], s[14:15], v[96:97]
	;; [unrolled: 1-line block ×4, first 2 shown]
	v_fma_f64 v[100:101], v[188:189], s[34:35], v[190:191]
	v_add_f64_e32 v[76:77], v[172:173], v[76:77]
	v_mul_f64_e32 v[206:207], s[26:27], v[96:97]
	v_fma_f64 v[96:97], v[188:189], s[30:31], v[182:183]
	v_fma_f64 v[70:71], v[72:73], v[176:177], v[0:1]
	v_mul_f64_e32 v[0:1], v[90:91], v[184:185]
	s_delay_alu instid0(VALU_DEP_1) | instskip(SKIP_3) | instid1(VALU_DEP_4)
	v_fma_f64 v[178:179], v[88:89], v[186:187], -v[0:1]
	v_mul_f64_e32 v[0:1], v[90:91], v[186:187]
	v_mul_f64_e32 v[90:91], s[34:35], v[78:79]
	;; [unrolled: 1-line block ×3, first 2 shown]
	v_add_f64_e64 v[154:155], v[66:67], -v[178:179]
	s_delay_alu instid0(VALU_DEP_4)
	v_fma_f64 v[88:89], v[88:89], v[184:185], v[0:1]
	v_fma_f64 v[0:1], v[231:232], s[12:13], -v[229:230]
	v_add_f64_e32 v[184:185], v[14:15], v[12:13]
	v_add_f64_e32 v[176:177], v[66:67], v[178:179]
	v_mul_f64_e32 v[251:252], s[30:31], v[154:155]
	v_add_f64_e32 v[219:220], v[70:71], v[88:89]
	v_add_f64_e32 v[0:1], v[172:173], v[0:1]
	v_fma_f64 v[2:3], v[184:185], s[8:9], -v[2:3]
	v_add_f64_e64 v[227:228], v[70:71], -v[88:89]
	v_mul_f64_e32 v[10:11], s[12:13], v[176:177]
	v_mul_f64_e32 v[124:125], s[8:9], v[176:177]
	v_fma_f64 v[86:87], v[184:185], s[14:15], -v[90:91]
	v_mul_f64_e32 v[194:195], s[18:19], v[176:177]
	v_add_f64_e32 v[0:1], v[2:3], v[0:1]
	v_fma_f64 v[2:3], v[239:240], s[38:39], v[237:238]
	s_delay_alu instid0(VALU_DEP_1) | instskip(NEXT) | instid1(VALU_DEP_1)
	v_add_f64_e32 v[2:3], v[174:175], v[2:3]
	v_add_f64_e32 v[2:3], v[4:5], v[2:3]
	v_mul_f64_e32 v[4:5], s[16:17], v[164:165]
	scratch_store_b64 off, v[4:5], off offset:396 ; 8-byte Folded Spill
	v_fma_f64 v[4:5], v[192:193], s[14:15], -v[4:5]
	s_clause 0x3
	scratch_store_b64 off, v[16:17], off offset:252
	scratch_store_b64 off, v[18:19], off offset:260
	;; [unrolled: 1-line block ×4, first 2 shown]
	v_add_f64_e32 v[0:1], v[4:5], v[0:1]
	v_mul_f64_e32 v[4:5], s[14:15], v[166:167]
	scratch_store_b64 off, v[4:5], off offset:404 ; 8-byte Folded Spill
	v_fma_f64 v[4:5], v[196:197], s[16:17], v[4:5]
	s_delay_alu instid0(VALU_DEP_1)
	v_add_f64_e32 v[2:3], v[4:5], v[2:3]
	v_mul_f64_e32 v[4:5], s[20:21], v[170:171]
	scratch_store_b64 off, v[4:5], off offset:412 ; 8-byte Folded Spill
	v_fma_f64 v[4:5], v[200:201], s[18:19], -v[4:5]
	s_clause 0x3
	scratch_store_b64 off, v[24:25], off offset:284
	scratch_store_b64 off, v[26:27], off offset:292
	scratch_store_b64 off, v[28:29], off offset:300
	scratch_store_b64 off, v[30:31], off offset:308
	v_mul_f64_e32 v[28:29], s[22:23], v[162:163]
	v_add_f64_e32 v[0:1], v[4:5], v[0:1]
	v_mul_f64_e32 v[4:5], s[18:19], v[210:211]
	s_delay_alu instid0(VALU_DEP_3) | instskip(SKIP_2) | instid1(VALU_DEP_1)
	v_fma_f64 v[30:31], v[188:189], s[36:37], v[28:29]
	scratch_store_b64 off, v[4:5], off offset:428 ; 8-byte Folded Spill
	v_fma_f64 v[4:5], v[215:216], s[20:21], v[4:5]
	v_add_f64_e32 v[2:3], v[4:5], v[2:3]
	v_mul_f64_e32 v[4:5], s[24:25], v[217:218]
	scratch_store_b64 off, v[4:5], off offset:420 ; 8-byte Folded Spill
	v_fma_f64 v[4:5], v[208:209], s[22:23], -v[4:5]
	s_clause 0x5
	scratch_store_b64 off, v[32:33], off offset:316
	scratch_store_b64 off, v[34:35], off offset:324
	;; [unrolled: 1-line block ×6, first 2 shown]
	v_add_f64_e32 v[0:1], v[4:5], v[0:1]
	v_mul_f64_e32 v[4:5], s[22:23], v[152:153]
	scratch_store_b64 off, v[4:5], off offset:444 ; 8-byte Folded Spill
	v_fma_f64 v[4:5], v[223:224], s[24:25], v[4:5]
	s_delay_alu instid0(VALU_DEP_1) | instskip(SKIP_3) | instid1(VALU_DEP_1)
	v_add_f64_e32 v[2:3], v[4:5], v[2:3]
	v_mul_f64_e32 v[4:5], s[28:29], v[154:155]
	scratch_store_b64 off, v[4:5], off offset:436 ; 8-byte Folded Spill
	v_fma_f64 v[4:5], v[219:220], s[26:27], -v[4:5]
	v_add_f64_e32 v[64:65], v[4:5], v[0:1]
	v_mul_f64_e32 v[0:1], s[26:27], v[176:177]
	v_fma_f64 v[4:5], v[188:189], s[20:21], v[241:242]
	scratch_store_b64 off, v[0:1], off offset:452 ; 8-byte Folded Spill
	v_fma_f64 v[0:1], v[227:228], s[28:29], v[0:1]
	global_wb scope:SCOPE_SE
	s_wait_storecnt 0x0
	s_barrier_signal -1
	s_barrier_wait -1
	global_inv scope:SCOPE_SE
	v_add_f64_e32 v[66:67], v[0:1], v[2:3]
	v_fma_f64 v[0:1], v[231:232], s[8:9], -v[198:199]
	v_fma_f64 v[2:3], v[184:185], s[18:19], -v[233:234]
	s_delay_alu instid0(VALU_DEP_2) | instskip(NEXT) | instid1(VALU_DEP_1)
	v_add_f64_e32 v[0:1], v[172:173], v[0:1]
	v_add_f64_e32 v[0:1], v[2:3], v[0:1]
	v_fma_f64 v[2:3], v[239:240], s[10:11], v[106:107]
	s_delay_alu instid0(VALU_DEP_1) | instskip(NEXT) | instid1(VALU_DEP_1)
	v_add_f64_e32 v[2:3], v[174:175], v[2:3]
	v_add_f64_e32 v[2:3], v[4:5], v[2:3]
	v_fma_f64 v[4:5], v[192:193], s[26:27], -v[235:236]
	s_delay_alu instid0(VALU_DEP_1) | instskip(SKIP_1) | instid1(VALU_DEP_1)
	v_add_f64_e32 v[0:1], v[4:5], v[0:1]
	v_fma_f64 v[4:5], v[196:197], s[28:29], v[245:246]
	v_add_f64_e32 v[2:3], v[4:5], v[2:3]
	v_fma_f64 v[4:5], v[200:201], s[22:23], -v[243:244]
	s_delay_alu instid0(VALU_DEP_1) | instskip(SKIP_1) | instid1(VALU_DEP_1)
	v_add_f64_e32 v[0:1], v[4:5], v[0:1]
	v_fma_f64 v[4:5], v[215:216], s[36:37], v[253:254]
	v_add_f64_e32 v[4:5], v[4:5], v[2:3]
	v_fma_f64 v[2:3], v[208:209], s[14:15], -v[249:250]
	s_delay_alu instid0(VALU_DEP_1) | instskip(SKIP_1) | instid1(VALU_DEP_1)
	v_add_f64_e32 v[0:1], v[2:3], v[0:1]
	v_mul_f64_e32 v[2:3], s[14:15], v[152:153]
	v_fma_f64 v[6:7], v[223:224], s[34:35], v[2:3]
	s_delay_alu instid0(VALU_DEP_1) | instskip(SKIP_1) | instid1(VALU_DEP_1)
	v_add_f64_e32 v[4:5], v[6:7], v[4:5]
	v_fma_f64 v[6:7], v[219:220], s[12:13], -v[251:252]
	v_add_f64_e32 v[68:69], v[6:7], v[0:1]
	v_fma_f64 v[0:1], v[227:228], s[30:31], v[10:11]
	s_delay_alu instid0(VALU_DEP_1) | instskip(SKIP_2) | instid1(VALU_DEP_2)
	v_add_f64_e32 v[70:71], v[0:1], v[4:5]
	v_fma_f64 v[0:1], v[231:232], s[14:15], -v[160:161]
	v_fma_f64 v[4:5], v[184:185], s[26:27], -v[247:248]
	v_add_f64_e32 v[0:1], v[172:173], v[0:1]
	s_delay_alu instid0(VALU_DEP_1) | instskip(SKIP_2) | instid1(VALU_DEP_2)
	v_add_f64_e32 v[6:7], v[4:5], v[0:1]
	v_fma_f64 v[0:1], v[239:240], s[16:17], v[202:203]
	v_mul_f64_e32 v[4:5], s[26:27], v[162:163]
	v_add_f64_e32 v[0:1], v[174:175], v[0:1]
	s_delay_alu instid0(VALU_DEP_2) | instskip(NEXT) | instid1(VALU_DEP_1)
	v_fma_f64 v[8:9], v[188:189], s[28:29], v[4:5]
	v_add_f64_e32 v[8:9], v[8:9], v[0:1]
	v_mul_f64_e32 v[0:1], s[40:41], v[164:165]
	s_delay_alu instid0(VALU_DEP_1) | instskip(NEXT) | instid1(VALU_DEP_1)
	v_fma_f64 v[12:13], v[192:193], s[18:19], -v[0:1]
	v_add_f64_e32 v[14:15], v[12:13], v[6:7]
	v_mul_f64_e32 v[12:13], s[18:19], v[166:167]
	s_delay_alu instid0(VALU_DEP_1) | instskip(NEXT) | instid1(VALU_DEP_1)
	v_fma_f64 v[6:7], v[196:197], s[40:41], v[12:13]
	v_add_f64_e32 v[8:9], v[6:7], v[8:9]
	v_mul_f64_e32 v[6:7], s[30:31], v[170:171]
	s_delay_alu instid0(VALU_DEP_1) | instskip(NEXT) | instid1(VALU_DEP_1)
	v_fma_f64 v[16:17], v[200:201], s[12:13], -v[6:7]
	v_add_f64_e32 v[16:17], v[16:17], v[14:15]
	v_mul_f64_e32 v[14:15], s[12:13], v[210:211]
	s_delay_alu instid0(VALU_DEP_1) | instskip(NEXT) | instid1(VALU_DEP_1)
	;; [unrolled: 8-line block ×4, first 2 shown]
	v_fma_f64 v[22:23], v[227:228], s[24:25], v[24:25]
	v_add_f64_e32 v[74:75], v[22:23], v[20:21]
	v_fma_f64 v[20:21], v[231:232], s[18:19], -v[221:222]
	s_delay_alu instid0(VALU_DEP_1) | instskip(SKIP_1) | instid1(VALU_DEP_1)
	v_add_f64_e32 v[22:23], v[172:173], v[20:21]
	v_mul_f64_e32 v[20:21], s[36:37], v[78:79]
	v_fma_f64 v[26:27], v[184:185], s[22:23], -v[20:21]
	s_delay_alu instid0(VALU_DEP_1) | instskip(SKIP_1) | instid1(VALU_DEP_1)
	v_add_f64_e32 v[26:27], v[26:27], v[22:23]
	v_fma_f64 v[22:23], v[239:240], s[20:21], v[92:93]
	v_add_f64_e32 v[22:23], v[174:175], v[22:23]
	s_delay_alu instid0(VALU_DEP_1) | instskip(SKIP_1) | instid1(VALU_DEP_1)
	v_add_f64_e32 v[30:31], v[30:31], v[22:23]
	v_mul_f64_e32 v[22:23], s[30:31], v[164:165]
	v_fma_f64 v[32:33], v[192:193], s[12:13], -v[22:23]
	s_delay_alu instid0(VALU_DEP_1) | instskip(SKIP_1) | instid1(VALU_DEP_1)
	v_add_f64_e32 v[34:35], v[32:33], v[26:27]
	v_mul_f64_e32 v[32:33], s[12:13], v[166:167]
	v_fma_f64 v[26:27], v[196:197], s[30:31], v[32:33]
	s_delay_alu instid0(VALU_DEP_1) | instskip(SKIP_1) | instid1(VALU_DEP_1)
	v_add_f64_e32 v[30:31], v[26:27], v[30:31]
	v_mul_f64_e32 v[26:27], s[16:17], v[170:171]
	v_fma_f64 v[36:37], v[200:201], s[14:15], -v[26:27]
	s_delay_alu instid0(VALU_DEP_1) | instskip(SKIP_1) | instid1(VALU_DEP_1)
	v_add_f64_e32 v[36:37], v[36:37], v[34:35]
	v_mul_f64_e32 v[34:35], s[14:15], v[210:211]
	v_fma_f64 v[38:39], v[215:216], s[16:17], v[34:35]
	;; [unrolled: 8-line block ×3, first 2 shown]
	s_delay_alu instid0(VALU_DEP_1) | instskip(SKIP_1) | instid1(VALU_DEP_1)
	v_add_f64_e32 v[84:85], v[36:37], v[80:81]
	v_mul_f64_e32 v[36:37], s[44:45], v[154:155]
	v_fma_f64 v[80:81], v[219:220], s[8:9], -v[36:37]
	s_delay_alu instid0(VALU_DEP_1) | instskip(SKIP_1) | instid1(VALU_DEP_1)
	v_add_f64_e32 v[80:81], v[80:81], v[82:83]
	v_fma_f64 v[82:83], v[227:228], s[44:45], v[124:125]
	v_add_f64_e32 v[82:83], v[82:83], v[84:85]
	v_fma_f64 v[84:85], v[231:232], s[22:23], -v[94:95]
	s_delay_alu instid0(VALU_DEP_1) | instskip(NEXT) | instid1(VALU_DEP_1)
	v_add_f64_e32 v[84:85], v[172:173], v[84:85]
	v_add_f64_e32 v[84:85], v[86:87], v[84:85]
	v_fma_f64 v[86:87], v[239:240], s[24:25], v[98:99]
	s_delay_alu instid0(VALU_DEP_1) | instskip(NEXT) | instid1(VALU_DEP_1)
	v_add_f64_e32 v[86:87], v[174:175], v[86:87]
	v_add_f64_e32 v[86:87], v[100:101], v[86:87]
	v_fma_f64 v[100:101], v[192:193], s[8:9], -v[204:205]
	s_delay_alu instid0(VALU_DEP_1) | instskip(SKIP_1) | instid1(VALU_DEP_1)
	v_add_f64_e32 v[84:85], v[100:101], v[84:85]
	v_fma_f64 v[100:101], v[196:197], s[10:11], v[126:127]
	v_add_f64_e32 v[86:87], v[100:101], v[86:87]
	v_fma_f64 v[100:101], v[200:201], s[26:27], -v[186:187]
	s_delay_alu instid0(VALU_DEP_1) | instskip(SKIP_1) | instid1(VALU_DEP_1)
	v_add_f64_e32 v[84:85], v[100:101], v[84:85]
	v_fma_f64 v[100:101], v[215:216], s[42:43], v[102:103]
	v_add_f64_e32 v[86:87], v[100:101], v[86:87]
	v_mul_f64_e32 v[100:101], s[30:31], v[217:218]
	s_delay_alu instid0(VALU_DEP_1) | instskip(NEXT) | instid1(VALU_DEP_1)
	v_fma_f64 v[104:105], v[208:209], s[12:13], -v[100:101]
	v_add_f64_e32 v[84:85], v[104:105], v[84:85]
	v_mul_f64_e32 v[104:105], s[12:13], v[152:153]
	s_delay_alu instid0(VALU_DEP_1) | instskip(NEXT) | instid1(VALU_DEP_1)
	v_fma_f64 v[168:169], v[223:224], s[30:31], v[104:105]
	v_add_f64_e32 v[86:87], v[168:169], v[86:87]
	v_mul_f64_e32 v[168:169], s[20:21], v[154:155]
	s_delay_alu instid0(VALU_DEP_1) | instskip(NEXT) | instid1(VALU_DEP_1)
	v_fma_f64 v[180:181], v[219:220], s[18:19], -v[168:169]
	v_add_f64_e32 v[84:85], v[180:181], v[84:85]
	v_fma_f64 v[180:181], v[227:228], s[20:21], v[194:195]
	s_delay_alu instid0(VALU_DEP_1) | instskip(SKIP_1) | instid1(VALU_DEP_1)
	v_add_f64_e32 v[86:87], v[180:181], v[86:87]
	v_mul_f64_e32 v[180:181], s[30:31], v[78:79]
	v_fma_f64 v[78:79], v[184:185], s[12:13], -v[180:181]
	s_delay_alu instid0(VALU_DEP_1) | instskip(SKIP_1) | instid1(VALU_DEP_1)
	v_add_f64_e32 v[76:77], v[78:79], v[76:77]
	v_fma_f64 v[78:79], v[239:240], s[28:29], v[206:207]
	v_add_f64_e32 v[78:79], v[174:175], v[78:79]
	s_delay_alu instid0(VALU_DEP_1) | instskip(SKIP_1) | instid1(VALU_DEP_1)
	v_add_f64_e32 v[78:79], v[96:97], v[78:79]
	v_fma_f64 v[96:97], v[192:193], s[22:23], -v[225:226]
	v_add_f64_e32 v[76:77], v[96:97], v[76:77]
	v_mul_f64_e32 v[96:97], s[22:23], v[166:167]
	v_mul_f64_e32 v[166:167], s[44:45], v[170:171]
	;; [unrolled: 1-line block ×4, first 2 shown]
	s_delay_alu instid0(VALU_DEP_4) | instskip(NEXT) | instid1(VALU_DEP_1)
	v_fma_f64 v[162:163], v[196:197], s[24:25], v[96:97]
	v_add_f64_e32 v[78:79], v[162:163], v[78:79]
	v_fma_f64 v[162:163], v[200:201], s[8:9], -v[166:167]
	s_delay_alu instid0(VALU_DEP_1) | instskip(SKIP_1) | instid1(VALU_DEP_1)
	v_add_f64_e32 v[76:77], v[162:163], v[76:77]
	v_fma_f64 v[162:163], v[215:216], s[44:45], v[170:171]
	v_add_f64_e32 v[78:79], v[162:163], v[78:79]
	v_mul_f64_e32 v[162:163], s[20:21], v[217:218]
	v_mul_f64_e32 v[217:218], s[18:19], v[152:153]
	s_delay_alu instid0(VALU_DEP_2) | instskip(NEXT) | instid1(VALU_DEP_2)
	v_fma_f64 v[164:165], v[208:209], s[18:19], -v[162:163]
	v_fma_f64 v[152:153], v[223:224], s[20:21], v[217:218]
	s_delay_alu instid0(VALU_DEP_2) | instskip(NEXT) | instid1(VALU_DEP_2)
	v_add_f64_e32 v[76:77], v[164:165], v[76:77]
	v_add_f64_e32 v[78:79], v[152:153], v[78:79]
	v_mul_f64_e32 v[164:165], s[14:15], v[176:177]
	v_fma_f64 v[152:153], v[219:220], s[14:15], -v[210:211]
	s_delay_alu instid0(VALU_DEP_1) | instskip(NEXT) | instid1(VALU_DEP_3)
	v_add_f64_e32 v[76:77], v[152:153], v[76:77]
	v_fma_f64 v[152:153], v[227:228], s[34:35], v[164:165]
	s_delay_alu instid0(VALU_DEP_1)
	v_add_f64_e32 v[78:79], v[152:153], v[78:79]
	s_and_saveexec_b32 s1, vcc_lo
	s_cbranch_execz .LBB0_13
; %bb.12:
	v_mul_f64_e32 v[152:153], s[28:29], v[239:240]
	v_mul_f64_e32 v[176:177], s[24:25], v[239:240]
	;; [unrolled: 1-line block ×3, first 2 shown]
	s_delay_alu instid0(VALU_DEP_3) | instskip(SKIP_1) | instid1(VALU_DEP_4)
	v_add_f64_e64 v[152:153], v[206:207], -v[152:153]
	v_mul_f64_e32 v[206:207], s[16:17], v[239:240]
	v_add_f64_e64 v[98:99], v[98:99], -v[176:177]
	v_mul_f64_e32 v[176:177], s[20:21], v[239:240]
	v_add_f64_e32 v[154:155], v[154:155], v[212:213]
	v_mul_f64_e32 v[212:213], s[12:13], v[231:232]
	v_add_f64_e32 v[152:153], v[174:175], v[152:153]
	v_add_f64_e64 v[202:203], v[202:203], -v[206:207]
	v_mul_f64_e32 v[206:207], s[14:15], v[231:232]
	v_add_f64_e64 v[92:93], v[92:93], -v[176:177]
	v_mul_f64_e32 v[176:177], s[18:19], v[231:232]
	v_add_f64_e32 v[154:155], v[172:173], v[154:155]
	v_add_f64_e32 v[212:213], v[212:213], v[229:230]
	scratch_load_b64 v[229:230], off, off offset:364 th:TH_LOAD_LU ; 8-byte Folded Reload
	v_add_f64_e32 v[202:203], v[174:175], v[202:203]
	v_add_f64_e32 v[160:161], v[206:207], v[160:161]
	v_mul_f64_e32 v[206:207], s[10:11], v[239:240]
	v_add_f64_e32 v[176:177], v[176:177], v[221:222]
	scratch_load_b64 v[221:222], off, off offset:356 th:TH_LOAD_LU ; 8-byte Folded Reload
	v_add_f64_e32 v[160:161], v[172:173], v[160:161]
	v_add_f64_e64 v[106:107], v[106:107], -v[206:207]
	v_mul_f64_e32 v[206:207], s[8:9], v[231:232]
	v_add_f64_e32 v[176:177], v[172:173], v[176:177]
	s_delay_alu instid0(VALU_DEP_2) | instskip(SKIP_3) | instid1(VALU_DEP_4)
	v_add_f64_e32 v[198:199], v[206:207], v[198:199]
	v_mul_f64_e32 v[206:207], s[22:23], v[231:232]
	v_add_f64_e32 v[231:232], v[174:175], v[98:99]
	v_add_f64_e32 v[98:99], v[174:175], v[106:107]
	v_add_f64_e32 v[106:107], v[172:173], v[198:199]
	s_delay_alu instid0(VALU_DEP_4) | instskip(SKIP_1) | instid1(VALU_DEP_2)
	v_add_f64_e32 v[94:95], v[206:207], v[94:95]
	v_mul_f64_e32 v[206:207], s[38:39], v[239:240]
	v_add_f64_e32 v[198:199], v[172:173], v[94:95]
	s_delay_alu instid0(VALU_DEP_2) | instskip(SKIP_3) | instid1(VALU_DEP_2)
	v_add_f64_e64 v[206:207], v[237:238], -v[206:207]
	v_add_f64_e32 v[237:238], v[174:175], v[92:93]
	v_mul_f64_e32 v[92:93], s[30:31], v[188:189]
	v_mul_f64_e32 v[94:95], s[12:13], v[184:185]
	v_add_f64_e64 v[92:93], v[182:183], -v[92:93]
	s_delay_alu instid0(VALU_DEP_2) | instskip(SKIP_2) | instid1(VALU_DEP_4)
	v_add_f64_e32 v[94:95], v[94:95], v[180:181]
	v_mul_f64_e32 v[180:181], s[24:25], v[196:197]
	v_mul_f64_e32 v[182:183], s[44:45], v[215:216]
	v_add_f64_e32 v[92:93], v[92:93], v[152:153]
	s_delay_alu instid0(VALU_DEP_4) | instskip(NEXT) | instid1(VALU_DEP_4)
	v_add_f64_e32 v[94:95], v[94:95], v[154:155]
	v_add_f64_e64 v[96:97], v[96:97], -v[180:181]
	v_mul_f64_e32 v[180:181], s[22:23], v[192:193]
	v_add_f64_e64 v[170:171], v[170:171], -v[182:183]
	v_mul_f64_e32 v[182:183], s[8:9], v[200:201]
	v_mul_f64_e32 v[152:153], s[18:19], v[208:209]
	;; [unrolled: 1-line block ×3, first 2 shown]
	v_add_f64_e32 v[92:93], v[96:97], v[92:93]
	v_add_f64_e32 v[180:181], v[180:181], v[225:226]
	v_mul_f64_e32 v[96:97], s[34:35], v[227:228]
	v_add_f64_e32 v[166:167], v[182:183], v[166:167]
	v_mul_f64_e32 v[182:183], s[20:21], v[223:224]
	v_add_f64_e32 v[152:153], v[152:153], v[162:163]
	v_add_f64_e32 v[154:155], v[154:155], v[210:211]
	v_mul_f64_e32 v[162:163], s[26:27], v[192:193]
	v_add_f64_e32 v[92:93], v[170:171], v[92:93]
	v_add_f64_e32 v[94:95], v[180:181], v[94:95]
	v_add_f64_e64 v[96:97], v[164:165], -v[96:97]
	v_mul_f64_e32 v[164:165], s[36:37], v[215:216]
	v_add_f64_e64 v[182:183], v[217:218], -v[182:183]
	v_mul_f64_e32 v[170:171], s[34:35], v[223:224]
	v_add_f64_e32 v[162:163], v[162:163], v[235:236]
	v_add_f64_e32 v[94:95], v[166:167], v[94:95]
	v_mul_f64_e32 v[166:167], s[22:23], v[200:201]
	v_add_f64_e64 v[164:165], v[253:254], -v[164:165]
	v_add_f64_e32 v[92:93], v[182:183], v[92:93]
	v_add_f64_e64 v[2:3], v[2:3], -v[170:171]
	v_add_f64_e32 v[152:153], v[152:153], v[94:95]
	v_add_f64_e32 v[166:167], v[166:167], v[243:244]
	s_delay_alu instid0(VALU_DEP_4) | instskip(SKIP_1) | instid1(VALU_DEP_4)
	v_add_f64_e32 v[94:95], v[96:97], v[92:93]
	v_mul_f64_e32 v[96:97], s[20:21], v[188:189]
	v_add_f64_e32 v[92:93], v[154:155], v[152:153]
	v_mul_f64_e32 v[152:153], s[18:19], v[184:185]
	v_mul_f64_e32 v[154:155], s[28:29], v[196:197]
	s_delay_alu instid0(VALU_DEP_4) | instskip(NEXT) | instid1(VALU_DEP_3)
	v_add_f64_e64 v[96:97], v[241:242], -v[96:97]
	v_add_f64_e32 v[152:153], v[152:153], v[233:234]
	s_delay_alu instid0(VALU_DEP_3) | instskip(NEXT) | instid1(VALU_DEP_3)
	v_add_f64_e64 v[154:155], v[245:246], -v[154:155]
	v_add_f64_e32 v[96:97], v[96:97], v[98:99]
	s_delay_alu instid0(VALU_DEP_3) | instskip(SKIP_2) | instid1(VALU_DEP_4)
	v_add_f64_e32 v[98:99], v[152:153], v[106:107]
	v_mul_f64_e32 v[106:107], s[14:15], v[208:209]
	v_mul_f64_e32 v[152:153], s[30:31], v[227:228]
	v_add_f64_e32 v[96:97], v[154:155], v[96:97]
	s_delay_alu instid0(VALU_DEP_4) | instskip(NEXT) | instid1(VALU_DEP_4)
	v_add_f64_e32 v[98:99], v[162:163], v[98:99]
	v_add_f64_e32 v[106:107], v[106:107], v[249:250]
	s_delay_alu instid0(VALU_DEP_4) | instskip(NEXT) | instid1(VALU_DEP_4)
	v_add_f64_e64 v[10:11], v[10:11], -v[152:153]
	v_add_f64_e32 v[96:97], v[164:165], v[96:97]
	v_mul_f64_e32 v[152:153], s[12:13], v[219:220]
	v_add_f64_e32 v[98:99], v[166:167], v[98:99]
	s_delay_alu instid0(VALU_DEP_3) | instskip(NEXT) | instid1(VALU_DEP_3)
	v_add_f64_e32 v[2:3], v[2:3], v[96:97]
	v_add_f64_e32 v[152:153], v[152:153], v[251:252]
	s_delay_alu instid0(VALU_DEP_3) | instskip(NEXT) | instid1(VALU_DEP_3)
	v_add_f64_e32 v[96:97], v[106:107], v[98:99]
	v_add_f64_e32 v[98:99], v[10:11], v[2:3]
	v_mul_f64_e32 v[10:11], s[40:41], v[196:197]
	v_mul_f64_e32 v[2:3], s[28:29], v[188:189]
	s_delay_alu instid0(VALU_DEP_4) | instskip(NEXT) | instid1(VALU_DEP_3)
	v_add_f64_e32 v[96:97], v[152:153], v[96:97]
	v_add_f64_e64 v[10:11], v[12:13], -v[10:11]
	v_mul_f64_e32 v[12:13], s[18:19], v[192:193]
	s_delay_alu instid0(VALU_DEP_4) | instskip(SKIP_1) | instid1(VALU_DEP_3)
	v_add_f64_e64 v[2:3], v[4:5], -v[2:3]
	v_mul_f64_e32 v[4:5], s[26:27], v[184:185]
	v_add_f64_e32 v[0:1], v[12:13], v[0:1]
	v_mul_f64_e32 v[12:13], s[30:31], v[215:216]
	s_delay_alu instid0(VALU_DEP_3) | instskip(SKIP_1) | instid1(VALU_DEP_3)
	v_add_f64_e32 v[4:5], v[4:5], v[247:248]
	v_add_f64_e32 v[2:3], v[2:3], v[202:203]
	v_add_f64_e64 v[12:13], v[14:15], -v[12:13]
	v_mul_f64_e32 v[14:15], s[12:13], v[200:201]
	s_delay_alu instid0(VALU_DEP_4) | instskip(NEXT) | instid1(VALU_DEP_4)
	v_add_f64_e32 v[4:5], v[4:5], v[160:161]
	v_add_f64_e32 v[2:3], v[10:11], v[2:3]
	v_mul_f64_e32 v[10:11], s[12:13], v[192:193]
	s_delay_alu instid0(VALU_DEP_4)
	v_add_f64_e32 v[6:7], v[14:15], v[6:7]
	v_mul_f64_e32 v[14:15], s[10:11], v[223:224]
	v_add_f64_e32 v[0:1], v[0:1], v[4:5]
	v_mul_f64_e32 v[4:5], s[24:25], v[227:228]
	v_add_f64_e32 v[2:3], v[12:13], v[2:3]
	v_add_f64_e32 v[10:11], v[10:11], v[22:23]
	v_mul_f64_e32 v[12:13], s[16:17], v[215:216]
	v_mul_f64_e32 v[22:23], s[12:13], v[208:209]
	v_add_f64_e64 v[14:15], v[18:19], -v[14:15]
	v_mul_f64_e32 v[18:19], s[8:9], v[208:209]
	v_add_f64_e32 v[0:1], v[6:7], v[0:1]
	v_mul_f64_e32 v[6:7], s[22:23], v[219:220]
	v_add_f64_e64 v[4:5], v[24:25], -v[4:5]
	v_add_f64_e64 v[12:13], v[34:35], -v[12:13]
	v_add_f64_e32 v[22:23], v[22:23], v[100:101]
	scratch_load_b64 v[24:25], off, off offset:412 th:TH_LOAD_LU ; 8-byte Folded Reload
	v_add_f64_e32 v[2:3], v[14:15], v[2:3]
	v_add_f64_e32 v[8:9], v[18:19], v[8:9]
	v_mul_f64_e32 v[14:15], s[14:15], v[200:201]
	v_add_f64_e32 v[6:7], v[6:7], v[16:17]
	v_mul_f64_e32 v[16:17], s[42:43], v[223:224]
	v_mul_f64_e32 v[18:19], s[26:27], v[208:209]
	v_add_f64_e32 v[2:3], v[4:5], v[2:3]
	v_add_f64_e32 v[0:1], v[8:9], v[0:1]
	v_mul_f64_e32 v[4:5], s[36:37], v[188:189]
	v_mul_f64_e32 v[8:9], s[30:31], v[196:197]
	v_add_f64_e32 v[14:15], v[14:15], v[26:27]
	v_add_f64_e64 v[16:17], v[38:39], -v[16:17]
	v_add_f64_e32 v[18:19], v[18:19], v[30:31]
	scratch_load_b64 v[26:27], off, off offset:444 th:TH_LOAD_LU ; 8-byte Folded Reload
	v_add_f64_e32 v[0:1], v[6:7], v[0:1]
	v_mul_f64_e32 v[6:7], s[22:23], v[184:185]
	v_add_f64_e64 v[4:5], v[28:29], -v[4:5]
	scratch_load_b64 v[28:29], off, off offset:420 th:TH_LOAD_LU ; 8-byte Folded Reload
	v_add_f64_e64 v[8:9], v[32:33], -v[8:9]
	v_add_f64_e32 v[6:7], v[6:7], v[20:21]
	v_add_f64_e32 v[4:5], v[4:5], v[237:238]
	v_mul_f64_e32 v[20:21], s[30:31], v[223:224]
	s_delay_alu instid0(VALU_DEP_3) | instskip(NEXT) | instid1(VALU_DEP_3)
	v_add_f64_e32 v[6:7], v[6:7], v[176:177]
	v_add_f64_e32 v[4:5], v[8:9], v[4:5]
	v_mul_f64_e32 v[8:9], s[44:45], v[227:228]
	s_delay_alu instid0(VALU_DEP_4) | instskip(NEXT) | instid1(VALU_DEP_4)
	v_add_f64_e64 v[20:21], v[104:105], -v[20:21]
	v_add_f64_e32 v[6:7], v[10:11], v[6:7]
	s_delay_alu instid0(VALU_DEP_4) | instskip(SKIP_2) | instid1(VALU_DEP_4)
	v_add_f64_e32 v[4:5], v[12:13], v[4:5]
	v_mul_f64_e32 v[10:11], s[8:9], v[219:220]
	v_add_f64_e64 v[8:9], v[124:125], -v[8:9]
	v_add_f64_e32 v[6:7], v[14:15], v[6:7]
	s_delay_alu instid0(VALU_DEP_4) | instskip(NEXT) | instid1(VALU_DEP_4)
	v_add_f64_e32 v[4:5], v[16:17], v[4:5]
	v_add_f64_e32 v[10:11], v[10:11], v[36:37]
	v_mul_f64_e32 v[14:15], s[8:9], v[192:193]
	v_mul_f64_e32 v[16:17], s[42:43], v[215:216]
	v_add_f64_e32 v[12:13], v[18:19], v[6:7]
	v_add_f64_e32 v[6:7], v[8:9], v[4:5]
	v_mul_f64_e32 v[8:9], s[34:35], v[188:189]
	v_add_f64_e32 v[14:15], v[14:15], v[204:205]
	v_mul_f64_e32 v[18:19], s[26:27], v[200:201]
	v_add_f64_e64 v[16:17], v[102:103], -v[16:17]
	v_add_f64_e32 v[4:5], v[10:11], v[12:13]
	v_mul_f64_e32 v[10:11], s[14:15], v[184:185]
	v_add_f64_e64 v[8:9], v[190:191], -v[8:9]
	v_mul_f64_e32 v[12:13], s[10:11], v[196:197]
	v_add_f64_e32 v[18:19], v[18:19], v[186:187]
	s_delay_alu instid0(VALU_DEP_4) | instskip(NEXT) | instid1(VALU_DEP_4)
	v_add_f64_e32 v[10:11], v[10:11], v[90:91]
	v_add_f64_e32 v[8:9], v[8:9], v[231:232]
	s_delay_alu instid0(VALU_DEP_4) | instskip(NEXT) | instid1(VALU_DEP_3)
	v_add_f64_e64 v[12:13], v[126:127], -v[12:13]
	v_add_f64_e32 v[10:11], v[10:11], v[198:199]
	s_delay_alu instid0(VALU_DEP_2) | instskip(SKIP_1) | instid1(VALU_DEP_3)
	v_add_f64_e32 v[8:9], v[12:13], v[8:9]
	v_mul_f64_e32 v[12:13], s[20:21], v[227:228]
	v_add_f64_e32 v[10:11], v[14:15], v[10:11]
	v_mul_f64_e32 v[14:15], s[18:19], v[219:220]
	s_delay_alu instid0(VALU_DEP_4) | instskip(NEXT) | instid1(VALU_DEP_4)
	v_add_f64_e32 v[8:9], v[16:17], v[8:9]
	v_add_f64_e64 v[12:13], v[194:195], -v[12:13]
	s_delay_alu instid0(VALU_DEP_4) | instskip(NEXT) | instid1(VALU_DEP_4)
	v_add_f64_e32 v[10:11], v[18:19], v[10:11]
	v_add_f64_e32 v[14:15], v[14:15], v[168:169]
	s_delay_alu instid0(VALU_DEP_4)
	v_add_f64_e32 v[8:9], v[20:21], v[8:9]
	s_clause 0x1
	scratch_load_b64 v[18:19], off, off offset:404 th:TH_LOAD_LU
	scratch_load_b64 v[20:21], off, off offset:396 th:TH_LOAD_LU
	v_add_f64_e32 v[16:17], v[22:23], v[10:11]
	scratch_load_b64 v[22:23], off, off offset:428 th:TH_LOAD_LU ; 8-byte Folded Reload
	v_add_f64_e32 v[10:11], v[12:13], v[8:9]
	v_mul_f64_e32 v[12:13], s[10:11], v[188:189]
	v_add_f64_e32 v[8:9], v[14:15], v[16:17]
	s_clause 0x1
	scratch_load_b64 v[14:15], off, off offset:388 th:TH_LOAD_LU
	scratch_load_b64 v[16:17], off, off offset:380 th:TH_LOAD_LU
	s_wait_loadcnt 0x8
	v_add_f64_e32 v[221:222], v[174:175], v[221:222]
	v_add_f64_e32 v[229:230], v[172:173], v[229:230]
	;; [unrolled: 1-line block ×4, first 2 shown]
	s_wait_loadcnt 0x1
	v_add_f64_e64 v[12:13], v[14:15], -v[12:13]
	v_mul_f64_e32 v[14:15], s[8:9], v[184:185]
	s_delay_alu instid0(VALU_DEP_2) | instskip(SKIP_1) | instid1(VALU_DEP_2)
	v_add_f64_e32 v[12:13], v[12:13], v[174:175]
	s_wait_loadcnt 0x0
	v_add_f64_e32 v[14:15], v[14:15], v[16:17]
	v_mul_f64_e32 v[16:17], s[16:17], v[196:197]
	s_delay_alu instid0(VALU_DEP_2) | instskip(NEXT) | instid1(VALU_DEP_2)
	v_add_f64_e32 v[14:15], v[14:15], v[172:173]
	v_add_f64_e64 v[16:17], v[18:19], -v[16:17]
	v_mul_f64_e32 v[18:19], s[14:15], v[192:193]
	s_delay_alu instid0(VALU_DEP_2) | instskip(NEXT) | instid1(VALU_DEP_2)
	v_add_f64_e32 v[12:13], v[16:17], v[12:13]
	v_add_f64_e32 v[18:19], v[18:19], v[20:21]
	v_mul_f64_e32 v[20:21], s[20:21], v[215:216]
	v_mul_f64_e32 v[16:17], s[28:29], v[227:228]
	s_delay_alu instid0(VALU_DEP_3) | instskip(NEXT) | instid1(VALU_DEP_3)
	v_add_f64_e32 v[14:15], v[18:19], v[14:15]
	v_add_f64_e64 v[20:21], v[22:23], -v[20:21]
	scratch_load_b64 v[18:19], off, off offset:452 th:TH_LOAD_LU ; 8-byte Folded Reload
	v_mul_f64_e32 v[22:23], s[18:19], v[200:201]
	v_add_f64_e32 v[12:13], v[20:21], v[12:13]
	scratch_load_b64 v[20:21], off, off offset:436 th:TH_LOAD_LU ; 8-byte Folded Reload
	v_add_f64_e32 v[22:23], v[22:23], v[24:25]
	v_mul_f64_e32 v[24:25], s[24:25], v[223:224]
	s_delay_alu instid0(VALU_DEP_2) | instskip(NEXT) | instid1(VALU_DEP_2)
	v_add_f64_e32 v[14:15], v[22:23], v[14:15]
	v_add_f64_e64 v[24:25], v[26:27], -v[24:25]
	v_mul_f64_e32 v[26:27], s[22:23], v[208:209]
	s_delay_alu instid0(VALU_DEP_2) | instskip(NEXT) | instid1(VALU_DEP_2)
	v_add_f64_e32 v[12:13], v[24:25], v[12:13]
	v_add_f64_e32 v[26:27], v[26:27], v[28:29]
	s_wait_loadcnt 0x1
	v_add_f64_e64 v[16:17], v[18:19], -v[16:17]
	v_mul_f64_e32 v[18:19], s[26:27], v[219:220]
	s_wait_loadcnt 0x0
	s_delay_alu instid0(VALU_DEP_1) | instskip(NEXT) | instid1(VALU_DEP_4)
	v_add_f64_e32 v[18:19], v[18:19], v[20:21]
	v_add_f64_e32 v[20:21], v[26:27], v[14:15]
	s_delay_alu instid0(VALU_DEP_4)
	v_add_f64_e32 v[14:15], v[16:17], v[12:13]
	scratch_load_b64 v[16:17], off, off offset:220 th:TH_LOAD_LU ; 8-byte Folded Reload
	v_add_f64_e32 v[12:13], v[18:19], v[20:21]
	s_clause 0x1
	scratch_load_b64 v[18:19], off, off offset:244 th:TH_LOAD_LU
	scratch_load_b64 v[20:21], off, off offset:252 th:TH_LOAD_LU
	s_wait_loadcnt 0x2
	v_add_f64_e32 v[16:17], v[221:222], v[16:17]
	s_wait_loadcnt 0x1
	v_add_f64_e32 v[18:19], v[229:230], v[18:19]
	s_wait_loadcnt 0x0
	s_delay_alu instid0(VALU_DEP_2)
	v_add_f64_e32 v[16:17], v[16:17], v[20:21]
	scratch_load_b64 v[20:21], off, off offset:276 th:TH_LOAD_LU ; 8-byte Folded Reload
	s_wait_loadcnt 0x0
	v_add_f64_e32 v[18:19], v[18:19], v[20:21]
	scratch_load_b64 v[20:21], off, off offset:284 th:TH_LOAD_LU ; 8-byte Folded Reload
	s_wait_loadcnt 0x0
	;; [unrolled: 3-line block ×6, first 2 shown]
	v_add_f64_e32 v[16:17], v[16:17], v[20:21]
	scratch_load_b64 v[20:21], off, off offset:372 th:TH_LOAD_LU ; 8-byte Folded Reload
	v_add_f64_e32 v[16:17], v[16:17], v[178:179]
	s_wait_loadcnt 0x0
	v_add_f64_e32 v[18:19], v[18:19], v[20:21]
	scratch_load_b64 v[20:21], off, off offset:324 th:TH_LOAD_LU ; 8-byte Folded Reload
	v_add_f64_e32 v[18:19], v[18:19], v[88:89]
	s_wait_loadcnt 0x0
	v_add_f64_e32 v[16:17], v[16:17], v[20:21]
	scratch_load_b64 v[20:21], off, off offset:332 th:TH_LOAD_LU ; 8-byte Folded Reload
	s_wait_loadcnt 0x0
	v_add_f64_e32 v[18:19], v[18:19], v[20:21]
	scratch_load_b64 v[20:21], off, off offset:292 th:TH_LOAD_LU ; 8-byte Folded Reload
	;; [unrolled: 3-line block ×9, first 2 shown]
	s_wait_loadcnt 0x0
	v_add_f64_e32 v[16:17], v[20:21], v[16:17]
	s_clause 0x1
	scratch_load_b32 v20, off, off offset:192 th:TH_LOAD_LU
	scratch_load_b32 v21, off, off offset:188 th:TH_LOAD_LU
	s_wait_loadcnt 0x1
	v_mul_u32_u24_e32 v20, 0x82, v20
	s_wait_loadcnt 0x0
	s_delay_alu instid0(VALU_DEP_1)
	v_add_lshl_u32 v20, v20, v21, 4
	ds_store_b128 v20, v[96:99] offset:320
	ds_store_b128 v20, v[0:3] offset:480
	;; [unrolled: 1-line block ×11, first 2 shown]
	ds_store_b128 v20, v[16:19]
	ds_store_b128 v20, v[64:67] offset:1920
.LBB0_13:
	s_wait_alu 0xfffe
	s_or_b32 exec_lo, exec_lo, s1
	global_wb scope:SCOPE_SE
	s_wait_dscnt 0x0
	s_barrier_signal -1
	s_barrier_wait -1
	global_inv scope:SCOPE_SE
	ds_load_b128 v[88:91], v255
	ds_load_b128 v[124:127], v255 offset:4160
	ds_load_b128 v[104:107], v255 offset:8320
	;; [unrolled: 1-line block ×6, first 2 shown]
	s_and_saveexec_b32 s1, s0
	s_cbranch_execz .LBB0_15
; %bb.14:
	ds_load_b128 v[76:79], v255 offset:2912
	ds_load_b128 v[84:87], v255 offset:7072
	;; [unrolled: 1-line block ×7, first 2 shown]
	s_wait_dscnt 0x0
	scratch_store_b128 off, v[0:3], off offset:4 ; 16-byte Folded Spill
.LBB0_15:
	s_wait_alu 0xfffe
	s_or_b32 exec_lo, exec_lo, s1
	s_wait_dscnt 0x5
	v_mul_f64_e32 v[0:1], v[122:123], v[126:127]
	v_mul_f64_e32 v[2:3], v[122:123], v[124:125]
	s_wait_dscnt 0x4
	v_mul_f64_e32 v[4:5], v[118:119], v[106:107]
	v_mul_f64_e32 v[6:7], v[118:119], v[104:105]
	;; [unrolled: 3-line block ×3, first 2 shown]
	v_mul_f64_e32 v[12:13], v[110:111], v[102:103]
	v_mul_f64_e32 v[14:15], v[110:111], v[100:101]
	;; [unrolled: 1-line block ×6, first 2 shown]
	s_mov_b32 s10, 0x37e14327
	s_mov_b32 s14, 0xe976ee23
	;; [unrolled: 1-line block ×16, first 2 shown]
	s_wait_alu 0xfffe
	s_mov_b32 s20, s16
	s_mov_b32 s24, s22
	;; [unrolled: 1-line block ×4, first 2 shown]
	global_wb scope:SCOPE_SE
	s_wait_storecnt 0x0
	s_barrier_signal -1
	s_barrier_wait -1
	global_inv scope:SCOPE_SE
	v_fma_f64 v[0:1], v[120:121], v[124:125], v[0:1]
	v_fma_f64 v[2:3], v[120:121], v[126:127], -v[2:3]
	v_fma_f64 v[4:5], v[116:117], v[104:105], v[4:5]
	v_fma_f64 v[6:7], v[116:117], v[106:107], -v[6:7]
	;; [unrolled: 2-line block ×6, first 2 shown]
	v_add_f64_e32 v[24:25], v[0:1], v[8:9]
	v_add_f64_e32 v[26:27], v[2:3], v[10:11]
	;; [unrolled: 1-line block ×4, first 2 shown]
	v_add_f64_e64 v[4:5], v[4:5], -v[12:13]
	v_add_f64_e64 v[6:7], v[6:7], -v[14:15]
	v_add_f64_e32 v[12:13], v[16:17], v[20:21]
	v_add_f64_e32 v[14:15], v[18:19], v[22:23]
	v_add_f64_e64 v[16:17], v[20:21], -v[16:17]
	v_add_f64_e64 v[18:19], v[22:23], -v[18:19]
	v_add_f64_e64 v[8:9], v[0:1], -v[8:9]
	v_add_f64_e64 v[10:11], v[2:3], -v[10:11]
	v_add_f64_e32 v[0:1], v[28:29], v[24:25]
	v_add_f64_e32 v[2:3], v[30:31], v[26:27]
	v_add_f64_e64 v[20:21], v[24:25], -v[12:13]
	v_add_f64_e64 v[22:23], v[26:27], -v[14:15]
	v_add_f64_e64 v[32:33], v[16:17], -v[4:5]
	v_add_f64_e64 v[34:35], v[18:19], -v[6:7]
	v_add_f64_e64 v[36:37], v[4:5], -v[8:9]
	v_add_f64_e64 v[38:39], v[6:7], -v[10:11]
	v_add_f64_e32 v[4:5], v[16:17], v[4:5]
	v_add_f64_e32 v[6:7], v[18:19], v[6:7]
	v_add_f64_e64 v[16:17], v[8:9], -v[16:17]
	v_add_f64_e64 v[18:19], v[10:11], -v[18:19]
	v_add_f64_e64 v[24:25], v[28:29], -v[24:25]
	v_add_f64_e64 v[26:27], v[30:31], -v[26:27]
	v_add_f64_e32 v[92:93], v[12:13], v[0:1]
	v_add_f64_e32 v[94:95], v[14:15], v[2:3]
	v_add_f64_e64 v[12:13], v[12:13], -v[28:29]
	v_add_f64_e64 v[14:15], v[14:15], -v[30:31]
	v_mul_f64_e32 v[20:21], s[10:11], v[20:21]
	v_mul_f64_e32 v[22:23], s[10:11], v[22:23]
	;; [unrolled: 1-line block ×6, first 2 shown]
	v_add_f64_e32 v[4:5], v[4:5], v[8:9]
	v_add_f64_e32 v[6:7], v[6:7], v[10:11]
	;; [unrolled: 1-line block ×4, first 2 shown]
	v_mul_f64_e32 v[28:29], s[18:19], v[12:13]
	v_mul_f64_e32 v[30:31], s[18:19], v[14:15]
	v_fma_f64 v[8:9], v[12:13], s[18:19], v[20:21]
	v_fma_f64 v[10:11], v[14:15], s[18:19], v[22:23]
	;; [unrolled: 1-line block ×4, first 2 shown]
	v_fma_f64 v[32:33], v[36:37], s[8:9], -v[32:33]
	v_fma_f64 v[34:35], v[38:39], s[8:9], -v[34:35]
	s_wait_alu 0xfffe
	v_fma_f64 v[16:17], v[16:17], s[24:25], -v[96:97]
	v_fma_f64 v[18:19], v[18:19], s[24:25], -v[98:99]
	v_fma_f64 v[20:21], v[24:25], s[20:21], -v[20:21]
	v_fma_f64 v[22:23], v[26:27], s[20:21], -v[22:23]
	v_fma_f64 v[36:37], v[92:93], s[12:13], v[0:1]
	v_fma_f64 v[38:39], v[94:95], s[12:13], v[2:3]
	v_fma_f64 v[24:25], v[24:25], s[16:17], -v[28:29]
	v_fma_f64 v[26:27], v[26:27], s[16:17], -v[30:31]
	v_fma_f64 v[28:29], v[4:5], s[26:27], v[12:13]
	v_fma_f64 v[30:31], v[6:7], s[26:27], v[14:15]
	v_fma_f64 v[32:33], v[4:5], s[26:27], v[32:33]
	v_fma_f64 v[34:35], v[6:7], s[26:27], v[34:35]
	v_fma_f64 v[88:89], v[4:5], s[26:27], v[16:17]
	v_fma_f64 v[90:91], v[6:7], s[26:27], v[18:19]
	v_add_f64_e32 v[92:93], v[8:9], v[36:37]
	v_add_f64_e32 v[94:95], v[10:11], v[38:39]
	;; [unrolled: 1-line block ×7, first 2 shown]
	v_add_f64_e64 v[6:7], v[94:95], -v[28:29]
	v_add_f64_e32 v[8:9], v[90:91], v[20:21]
	v_add_f64_e64 v[10:11], v[22:23], -v[88:89]
	v_add_f64_e64 v[12:13], v[16:17], -v[34:35]
	v_add_f64_e32 v[14:15], v[32:33], v[18:19]
	v_add_f64_e32 v[16:17], v[34:35], v[16:17]
	v_add_f64_e64 v[18:19], v[18:19], -v[32:33]
	v_add_f64_e64 v[20:21], v[20:21], -v[90:91]
	v_add_f64_e32 v[22:23], v[88:89], v[22:23]
	v_add_f64_e64 v[24:25], v[92:93], -v[30:31]
	v_add_f64_e32 v[26:27], v[28:29], v[94:95]
	ds_store_b128 v214, v[0:3]
	ds_store_b128 v214, v[4:7] offset:2080
	ds_store_b128 v214, v[8:11] offset:4160
	;; [unrolled: 1-line block ×6, first 2 shown]
	s_and_saveexec_b32 s1, s0
	s_cbranch_execz .LBB0_17
; %bb.16:
	scratch_load_b128 v[24:27], off, off offset:4 th:TH_LOAD_LU ; 16-byte Folded Reload
	v_mul_f64_e32 v[2:3], v[46:47], v[84:85]
	v_mul_f64_e32 v[4:5], v[62:63], v[64:65]
	;; [unrolled: 1-line block ×10, first 2 shown]
	v_fma_f64 v[2:3], v[44:45], v[86:87], -v[2:3]
	v_fma_f64 v[4:5], v[60:61], v[66:67], -v[4:5]
	;; [unrolled: 1-line block ×3, first 2 shown]
	v_fma_f64 v[8:9], v[44:45], v[84:85], v[8:9]
	v_fma_f64 v[12:13], v[40:41], v[80:81], v[12:13]
	;; [unrolled: 1-line block ×5, first 2 shown]
	v_fma_f64 v[20:21], v[56:57], v[74:75], -v[20:21]
	v_fma_f64 v[22:23], v[52:53], v[70:71], -v[22:23]
	v_add_f64_e32 v[30:31], v[12:13], v[14:15]
	v_add_f64_e64 v[12:13], v[12:13], -v[14:15]
	v_add_f64_e64 v[32:33], v[16:17], -v[18:19]
	v_add_f64_e32 v[16:17], v[18:19], v[16:17]
	v_add_f64_e32 v[14:15], v[20:21], v[22:23]
	v_add_f64_e64 v[18:19], v[22:23], -v[20:21]
	s_wait_loadcnt 0x0
	v_mul_f64_e32 v[0:1], v[50:51], v[24:25]
	v_mul_f64_e32 v[10:11], v[50:51], v[26:27]
	s_delay_alu instid0(VALU_DEP_2) | instskip(NEXT) | instid1(VALU_DEP_2)
	v_fma_f64 v[0:1], v[48:49], v[26:27], -v[0:1]
	v_fma_f64 v[10:11], v[48:49], v[24:25], v[10:11]
	v_add_f64_e32 v[26:27], v[6:7], v[4:5]
	v_add_f64_e64 v[4:5], v[6:7], -v[4:5]
	s_delay_alu instid0(VALU_DEP_4) | instskip(NEXT) | instid1(VALU_DEP_4)
	v_add_f64_e32 v[24:25], v[2:3], v[0:1]
	v_add_f64_e32 v[28:29], v[8:9], v[10:11]
	v_add_f64_e64 v[8:9], v[8:9], -v[10:11]
	v_add_f64_e64 v[6:7], v[2:3], -v[0:1]
	;; [unrolled: 1-line block ×4, first 2 shown]
	v_add_f64_e32 v[10:11], v[26:27], v[24:25]
	v_add_f64_e32 v[0:1], v[30:31], v[28:29]
	v_add_f64_e64 v[20:21], v[24:25], -v[14:15]
	v_add_f64_e64 v[22:23], v[28:29], -v[16:17]
	;; [unrolled: 1-line block ×5, first 2 shown]
	v_add_f64_e32 v[12:13], v[32:33], v[12:13]
	v_add_f64_e32 v[4:5], v[18:19], v[4:5]
	v_mul_f64_e32 v[32:33], s[14:15], v[2:3]
	v_add_f64_e64 v[18:19], v[6:7], -v[18:19]
	v_add_f64_e64 v[24:25], v[26:27], -v[24:25]
	v_mul_f64_e32 v[36:37], s[14:15], v[36:37]
	v_add_f64_e64 v[28:29], v[30:31], -v[28:29]
	v_add_f64_e32 v[10:11], v[14:15], v[10:11]
	v_add_f64_e64 v[14:15], v[14:15], -v[26:27]
	v_add_f64_e32 v[40:41], v[16:17], v[0:1]
	v_add_f64_e64 v[16:17], v[16:17], -v[30:31]
	v_mul_f64_e32 v[20:21], s[10:11], v[20:21]
	v_mul_f64_e32 v[22:23], s[10:11], v[22:23]
	v_mul_f64_e32 v[44:45], s[8:9], v[34:35]
	v_mul_f64_e32 v[46:47], s[8:9], v[38:39]
	v_add_f64_e32 v[8:9], v[12:13], v[8:9]
	v_add_f64_e32 v[4:5], v[4:5], v[6:7]
	v_fma_f64 v[6:7], v[42:43], s[22:23], v[32:33]
	v_fma_f64 v[32:33], v[34:35], s[8:9], -v[32:33]
	v_fma_f64 v[34:35], v[38:39], s[8:9], -v[36:37]
	v_add_f64_e32 v[2:3], v[78:79], v[10:11]
	v_mul_f64_e32 v[26:27], s[18:19], v[14:15]
	v_add_f64_e32 v[0:1], v[76:77], v[40:41]
	v_mul_f64_e32 v[30:31], s[18:19], v[16:17]
	v_fma_f64 v[12:13], v[14:15], s[18:19], v[20:21]
	v_fma_f64 v[14:15], v[16:17], s[18:19], v[22:23]
	v_fma_f64 v[16:17], v[42:43], s[24:25], -v[44:45]
	v_fma_f64 v[20:21], v[24:25], s[20:21], -v[20:21]
	;; [unrolled: 1-line block ×3, first 2 shown]
	v_fma_f64 v[10:11], v[10:11], s[12:13], v[2:3]
	v_fma_f64 v[24:25], v[24:25], s[16:17], -v[26:27]
	v_fma_f64 v[26:27], v[18:19], s[22:23], v[36:37]
	v_fma_f64 v[18:19], v[18:19], s[24:25], -v[46:47]
	v_fma_f64 v[36:37], v[40:41], s[12:13], v[0:1]
	v_fma_f64 v[28:29], v[28:29], s[16:17], -v[30:31]
	v_fma_f64 v[30:31], v[8:9], s[26:27], v[6:7]
	v_fma_f64 v[16:17], v[8:9], s[26:27], v[16:17]
	;; [unrolled: 1-line block ×3, first 2 shown]
	v_add_f64_e32 v[12:13], v[12:13], v[10:11]
	v_add_f64_e32 v[20:21], v[20:21], v[10:11]
	v_fma_f64 v[32:33], v[4:5], s[26:27], v[26:27]
	v_fma_f64 v[38:39], v[4:5], s[26:27], v[18:19]
	;; [unrolled: 1-line block ×3, first 2 shown]
	v_add_f64_e32 v[28:29], v[28:29], v[36:37]
	v_add_f64_e32 v[24:25], v[24:25], v[10:11]
	;; [unrolled: 1-line block ×6, first 2 shown]
	v_add_f64_e64 v[22:23], v[20:21], -v[16:17]
	v_add_f64_e64 v[26:27], v[12:13], -v[30:31]
	;; [unrolled: 1-line block ×3, first 2 shown]
	v_add_f64_e32 v[12:13], v[4:5], v[28:29]
	scratch_load_b32 v28, off, off offset:196 th:TH_LOAD_LU ; 4-byte Folded Reload
	v_add_f64_e64 v[14:15], v[24:25], -v[8:9]
	v_add_f64_e32 v[18:19], v[8:9], v[24:25]
	v_add_f64_e32 v[24:25], v[32:33], v[34:35]
	;; [unrolled: 1-line block ×3, first 2 shown]
	v_add_f64_e64 v[8:9], v[40:41], -v[38:39]
	v_add_f64_e64 v[4:5], v[34:35], -v[32:33]
	s_wait_loadcnt 0x0
	v_lshlrev_b32_e32 v28, 4, v28
	ds_store_b128 v28, v[0:3] offset:14560
	ds_store_b128 v28, v[24:27] offset:16640
	;; [unrolled: 1-line block ×7, first 2 shown]
.LBB0_17:
	s_wait_alu 0xfffe
	s_or_b32 exec_lo, exec_lo, s1
	global_wb scope:SCOPE_SE
	s_wait_dscnt 0x0
	s_barrier_signal -1
	s_barrier_wait -1
	global_inv scope:SCOPE_SE
	ds_load_b128 v[0:3], v255 offset:14560
	ds_load_b128 v[4:7], v255 offset:17472
	;; [unrolled: 1-line block ×6, first 2 shown]
	s_mul_u64 s[0:1], s[4:5], 0xb60
	s_wait_dscnt 0x5
	v_mul_f64_e32 v[24:25], v[138:139], v[2:3]
	v_mul_f64_e32 v[26:27], v[138:139], v[0:1]
	s_wait_dscnt 0x4
	v_mul_f64_e32 v[28:29], v[142:143], v[6:7]
	v_mul_f64_e32 v[30:31], v[142:143], v[4:5]
	;; [unrolled: 3-line block ×5, first 2 shown]
	v_fma_f64 v[24:25], v[136:137], v[0:1], v[24:25]
	v_fma_f64 v[26:27], v[136:137], v[2:3], -v[26:27]
	v_fma_f64 v[28:29], v[140:141], v[4:5], v[28:29]
	v_fma_f64 v[30:31], v[140:141], v[6:7], -v[30:31]
	;; [unrolled: 2-line block ×5, first 2 shown]
	ds_load_b128 v[0:3], v255
	ds_load_b128 v[4:7], v255 offset:2912
	ds_load_b128 v[8:11], v255 offset:5824
	;; [unrolled: 1-line block ×3, first 2 shown]
	s_wait_dscnt 0x3
	v_add_f64_e64 v[16:17], v[0:1], -v[24:25]
	v_add_f64_e64 v[18:19], v[2:3], -v[26:27]
	s_wait_dscnt 0x2
	v_add_f64_e64 v[24:25], v[4:5], -v[28:29]
	v_add_f64_e64 v[26:27], v[6:7], -v[30:31]
	s_wait_dscnt 0x1
	v_add_f64_e64 v[28:29], v[8:9], -v[32:33]
	v_add_f64_e64 v[30:31], v[10:11], -v[34:35]
	s_wait_dscnt 0x0
	v_add_f64_e64 v[32:33], v[12:13], -v[36:37]
	v_add_f64_e64 v[34:35], v[14:15], -v[38:39]
	v_add_f64_e64 v[36:37], v[20:21], -v[40:41]
	v_add_f64_e64 v[38:39], v[22:23], -v[42:43]
	v_fma_f64 v[0:1], v[0:1], 2.0, -v[16:17]
	v_fma_f64 v[2:3], v[2:3], 2.0, -v[18:19]
	;; [unrolled: 1-line block ×10, first 2 shown]
	ds_store_b128 v255, v[24:27] offset:17472
	ds_store_b128 v255, v[28:31] offset:20384
	;; [unrolled: 1-line block ×4, first 2 shown]
	ds_store_b128 v255, v[0:3]
	ds_store_b128 v255, v[4:7] offset:2912
	ds_store_b128 v255, v[8:11] offset:5824
	;; [unrolled: 1-line block ×5, first 2 shown]
	global_wb scope:SCOPE_SE
	s_wait_dscnt 0x0
	s_barrier_signal -1
	s_barrier_wait -1
	global_inv scope:SCOPE_SE
	ds_load_b128 v[0:3], v255
	ds_load_b128 v[4:7], v255 offset:2912
	scratch_load_b64 v[8:9], off, off offset:20 th:TH_LOAD_LU ; 8-byte Folded Reload
	s_wait_loadcnt 0x0
	v_mov_b32_e32 v44, v8
	ds_load_b128 v[8:11], v255 offset:5824
	ds_load_b128 v[12:15], v255 offset:8736
	scratch_load_b32 v85, off, off th:TH_LOAD_LU ; 4-byte Folded Reload
	ds_load_b128 v[16:19], v255 offset:11648
	ds_load_b128 v[20:23], v255 offset:14560
	;; [unrolled: 1-line block ×6, first 2 shown]
	scratch_load_b128 v[87:90], off, off offset:28 th:TH_LOAD_LU ; 16-byte Folded Reload
	v_mad_co_u64_u32 v[40:41], null, s6, v44, 0
	s_wait_loadcnt 0x1
	v_mad_co_u64_u32 v[42:43], null, s4, v85, 0
	s_wait_loadcnt_dscnt 0x9
	v_mul_f64_e32 v[47:48], v[89:90], v[0:1]
	s_delay_alu instid0(VALU_DEP_2) | instskip(SKIP_4) | instid1(VALU_DEP_1)
	v_mad_co_u64_u32 v[44:45], null, s7, v44, v[41:42]
	v_mul_f64_e32 v[45:46], v[89:90], v[2:3]
	scratch_load_b128 v[89:92], off, off offset:44 th:TH_LOAD_LU ; 16-byte Folded Reload
	v_mad_co_u64_u32 v[85:86], null, s5, v85, v[43:44]
	v_mov_b32_e32 v41, v44
	v_lshlrev_b64_e32 v[40:41], 4, v[40:41]
	s_delay_alu instid0(VALU_DEP_3) | instskip(NEXT) | instid1(VALU_DEP_1)
	v_mov_b32_e32 v43, v85
	v_lshlrev_b64_e32 v[42:43], 4, v[42:43]
	s_delay_alu instid0(VALU_DEP_3) | instskip(SKIP_1) | instid1(VALU_DEP_4)
	v_add_co_u32 v40, vcc_lo, s2, v40
	s_wait_alu 0xfffd
	v_add_co_ci_u32_e32 v41, vcc_lo, s3, v41, vcc_lo
	s_mov_b32 s2, 0x12012012
	s_delay_alu instid0(VALU_DEP_2) | instskip(SKIP_1) | instid1(VALU_DEP_2)
	v_add_co_u32 v40, vcc_lo, v40, v42
	s_wait_alu 0xfffd
	v_add_co_ci_u32_e32 v41, vcc_lo, v41, v43, vcc_lo
	s_mov_b32 s3, 0x3f420120
	v_fma_f64 v[2:3], v[87:88], v[2:3], -v[47:48]
	s_wait_alu 0xfffe
	v_add_co_u32 v42, vcc_lo, v40, s0
	s_wait_alu 0xfffd
	v_add_co_ci_u32_e32 v43, vcc_lo, s1, v41, vcc_lo
	s_delay_alu instid0(VALU_DEP_2) | instskip(SKIP_2) | instid1(VALU_DEP_3)
	v_add_co_u32 v44, vcc_lo, v42, s0
	v_fma_f64 v[0:1], v[87:88], v[0:1], v[45:46]
	s_wait_alu 0xfffd
	v_add_co_ci_u32_e32 v45, vcc_lo, s1, v43, vcc_lo
	s_delay_alu instid0(VALU_DEP_3) | instskip(SKIP_1) | instid1(VALU_DEP_2)
	v_add_co_u32 v46, vcc_lo, v44, s0
	s_wait_alu 0xfffd
	v_add_co_ci_u32_e32 v47, vcc_lo, s1, v45, vcc_lo
	s_delay_alu instid0(VALU_DEP_2)
	v_add_co_u32 v48, vcc_lo, v46, s0
	v_mul_f64_e32 v[2:3], s[2:3], v[2:3]
	v_mul_f64_e32 v[0:1], s[2:3], v[0:1]
	s_wait_loadcnt_dscnt 0x8
	v_mul_f64_e32 v[49:50], v[91:92], v[6:7]
	v_mul_f64_e32 v[51:52], v[91:92], v[4:5]
	scratch_load_b128 v[91:94], off, off offset:60 th:TH_LOAD_LU ; 16-byte Folded Reload
	v_fma_f64 v[4:5], v[89:90], v[4:5], v[49:50]
	v_fma_f64 v[6:7], v[89:90], v[6:7], -v[51:52]
	s_wait_alu 0xfffd
	v_add_co_ci_u32_e32 v49, vcc_lo, s1, v47, vcc_lo
	v_add_co_u32 v50, vcc_lo, v48, s0
	s_wait_alu 0xfffd
	s_delay_alu instid0(VALU_DEP_2) | instskip(NEXT) | instid1(VALU_DEP_2)
	v_add_co_ci_u32_e32 v51, vcc_lo, s1, v49, vcc_lo
	v_add_co_u32 v52, vcc_lo, v50, s0
	v_mul_f64_e32 v[4:5], s[2:3], v[4:5]
	v_mul_f64_e32 v[6:7], s[2:3], v[6:7]
	s_wait_loadcnt_dscnt 0x7
	v_mul_f64_e32 v[53:54], v[93:94], v[10:11]
	v_mul_f64_e32 v[55:56], v[93:94], v[8:9]
	scratch_load_b128 v[93:96], off, off offset:76 th:TH_LOAD_LU ; 16-byte Folded Reload
	v_fma_f64 v[8:9], v[91:92], v[8:9], v[53:54]
	v_fma_f64 v[10:11], v[91:92], v[10:11], -v[55:56]
	s_wait_alu 0xfffd
	v_add_co_ci_u32_e32 v53, vcc_lo, s1, v51, vcc_lo
	v_add_co_u32 v54, vcc_lo, v52, s0
	s_wait_alu 0xfffd
	s_delay_alu instid0(VALU_DEP_2) | instskip(NEXT) | instid1(VALU_DEP_2)
	v_add_co_ci_u32_e32 v55, vcc_lo, s1, v53, vcc_lo
	v_add_co_u32 v56, vcc_lo, v54, s0
	v_mul_f64_e32 v[8:9], s[2:3], v[8:9]
	v_mul_f64_e32 v[10:11], s[2:3], v[10:11]
	s_wait_loadcnt_dscnt 0x6
	v_mul_f64_e32 v[57:58], v[95:96], v[14:15]
	v_mul_f64_e32 v[59:60], v[95:96], v[12:13]
	scratch_load_b128 v[95:98], off, off offset:92 th:TH_LOAD_LU ; 16-byte Folded Reload
	v_fma_f64 v[12:13], v[93:94], v[12:13], v[57:58]
	v_fma_f64 v[14:15], v[93:94], v[14:15], -v[59:60]
	s_wait_alu 0xfffd
	v_add_co_ci_u32_e32 v57, vcc_lo, s1, v55, vcc_lo
	v_add_co_u32 v58, vcc_lo, v56, s0
	s_wait_alu 0xfffd
	s_delay_alu instid0(VALU_DEP_2)
	v_add_co_ci_u32_e32 v59, vcc_lo, s1, v57, vcc_lo
	v_mul_f64_e32 v[12:13], s[2:3], v[12:13]
	v_mul_f64_e32 v[14:15], s[2:3], v[14:15]
	s_wait_loadcnt_dscnt 0x5
	v_mul_f64_e32 v[61:62], v[97:98], v[18:19]
	v_mul_f64_e32 v[63:64], v[97:98], v[16:17]
	scratch_load_b128 v[97:100], off, off offset:108 th:TH_LOAD_LU ; 16-byte Folded Reload
	v_fma_f64 v[16:17], v[95:96], v[16:17], v[61:62]
	v_fma_f64 v[18:19], v[95:96], v[18:19], -v[63:64]
	s_delay_alu instid0(VALU_DEP_2) | instskip(NEXT) | instid1(VALU_DEP_2)
	v_mul_f64_e32 v[16:17], s[2:3], v[16:17]
	v_mul_f64_e32 v[18:19], s[2:3], v[18:19]
	s_wait_loadcnt_dscnt 0x4
	v_mul_f64_e32 v[65:66], v[99:100], v[22:23]
	v_mul_f64_e32 v[67:68], v[99:100], v[20:21]
	scratch_load_b128 v[99:102], off, off offset:124 th:TH_LOAD_LU ; 16-byte Folded Reload
	v_fma_f64 v[20:21], v[97:98], v[20:21], v[65:66]
	v_fma_f64 v[22:23], v[97:98], v[22:23], -v[67:68]
	s_delay_alu instid0(VALU_DEP_2) | instskip(NEXT) | instid1(VALU_DEP_2)
	;; [unrolled: 9-line block ×5, first 2 shown]
	v_mul_f64_e32 v[32:33], s[2:3], v[32:33]
	v_mul_f64_e32 v[34:35], s[2:3], v[34:35]
	s_wait_loadcnt_dscnt 0x0
	v_mul_f64_e32 v[81:82], v[107:108], v[38:39]
	v_mul_f64_e32 v[83:84], v[107:108], v[36:37]
	s_delay_alu instid0(VALU_DEP_2) | instskip(NEXT) | instid1(VALU_DEP_2)
	v_fma_f64 v[36:37], v[105:106], v[36:37], v[81:82]
	v_fma_f64 v[38:39], v[105:106], v[38:39], -v[83:84]
	s_delay_alu instid0(VALU_DEP_2) | instskip(NEXT) | instid1(VALU_DEP_2)
	v_mul_f64_e32 v[36:37], s[2:3], v[36:37]
	v_mul_f64_e32 v[38:39], s[2:3], v[38:39]
	s_clause 0x4
	global_store_b128 v[40:41], v[0:3], off
	global_store_b128 v[42:43], v[4:7], off
	;; [unrolled: 1-line block ×10, first 2 shown]
.LBB0_18:
	s_nop 0
	s_sendmsg sendmsg(MSG_DEALLOC_VGPRS)
	s_endpgm
	.section	.rodata,"a",@progbits
	.p2align	6, 0x0
	.amdhsa_kernel bluestein_single_fwd_len1820_dim1_dp_op_CI_CI
		.amdhsa_group_segment_fixed_size 29120
		.amdhsa_private_segment_fixed_size 464
		.amdhsa_kernarg_size 104
		.amdhsa_user_sgpr_count 2
		.amdhsa_user_sgpr_dispatch_ptr 0
		.amdhsa_user_sgpr_queue_ptr 0
		.amdhsa_user_sgpr_kernarg_segment_ptr 1
		.amdhsa_user_sgpr_dispatch_id 0
		.amdhsa_user_sgpr_private_segment_size 0
		.amdhsa_wavefront_size32 1
		.amdhsa_uses_dynamic_stack 0
		.amdhsa_enable_private_segment 1
		.amdhsa_system_sgpr_workgroup_id_x 1
		.amdhsa_system_sgpr_workgroup_id_y 0
		.amdhsa_system_sgpr_workgroup_id_z 0
		.amdhsa_system_sgpr_workgroup_info 0
		.amdhsa_system_vgpr_workitem_id 0
		.amdhsa_next_free_vgpr 256
		.amdhsa_next_free_sgpr 46
		.amdhsa_reserve_vcc 1
		.amdhsa_float_round_mode_32 0
		.amdhsa_float_round_mode_16_64 0
		.amdhsa_float_denorm_mode_32 3
		.amdhsa_float_denorm_mode_16_64 3
		.amdhsa_fp16_overflow 0
		.amdhsa_workgroup_processor_mode 1
		.amdhsa_memory_ordered 1
		.amdhsa_forward_progress 0
		.amdhsa_round_robin_scheduling 0
		.amdhsa_exception_fp_ieee_invalid_op 0
		.amdhsa_exception_fp_denorm_src 0
		.amdhsa_exception_fp_ieee_div_zero 0
		.amdhsa_exception_fp_ieee_overflow 0
		.amdhsa_exception_fp_ieee_underflow 0
		.amdhsa_exception_fp_ieee_inexact 0
		.amdhsa_exception_int_div_zero 0
	.end_amdhsa_kernel
	.text
.Lfunc_end0:
	.size	bluestein_single_fwd_len1820_dim1_dp_op_CI_CI, .Lfunc_end0-bluestein_single_fwd_len1820_dim1_dp_op_CI_CI
                                        ; -- End function
	.section	.AMDGPU.csdata,"",@progbits
; Kernel info:
; codeLenInByte = 20324
; NumSgprs: 48
; NumVgprs: 256
; ScratchSize: 464
; MemoryBound: 0
; FloatMode: 240
; IeeeMode: 1
; LDSByteSize: 29120 bytes/workgroup (compile time only)
; SGPRBlocks: 5
; VGPRBlocks: 31
; NumSGPRsForWavesPerEU: 48
; NumVGPRsForWavesPerEU: 256
; Occupancy: 5
; WaveLimiterHint : 1
; COMPUTE_PGM_RSRC2:SCRATCH_EN: 1
; COMPUTE_PGM_RSRC2:USER_SGPR: 2
; COMPUTE_PGM_RSRC2:TRAP_HANDLER: 0
; COMPUTE_PGM_RSRC2:TGID_X_EN: 1
; COMPUTE_PGM_RSRC2:TGID_Y_EN: 0
; COMPUTE_PGM_RSRC2:TGID_Z_EN: 0
; COMPUTE_PGM_RSRC2:TIDIG_COMP_CNT: 0
	.text
	.p2alignl 7, 3214868480
	.fill 96, 4, 3214868480
	.type	__hip_cuid_93d509db5d29b232,@object ; @__hip_cuid_93d509db5d29b232
	.section	.bss,"aw",@nobits
	.globl	__hip_cuid_93d509db5d29b232
__hip_cuid_93d509db5d29b232:
	.byte	0                               ; 0x0
	.size	__hip_cuid_93d509db5d29b232, 1

	.ident	"AMD clang version 19.0.0git (https://github.com/RadeonOpenCompute/llvm-project roc-6.4.0 25133 c7fe45cf4b819c5991fe208aaa96edf142730f1d)"
	.section	".note.GNU-stack","",@progbits
	.addrsig
	.addrsig_sym __hip_cuid_93d509db5d29b232
	.amdgpu_metadata
---
amdhsa.kernels:
  - .args:
      - .actual_access:  read_only
        .address_space:  global
        .offset:         0
        .size:           8
        .value_kind:     global_buffer
      - .actual_access:  read_only
        .address_space:  global
        .offset:         8
        .size:           8
        .value_kind:     global_buffer
      - .actual_access:  read_only
        .address_space:  global
        .offset:         16
        .size:           8
        .value_kind:     global_buffer
      - .actual_access:  read_only
        .address_space:  global
        .offset:         24
        .size:           8
        .value_kind:     global_buffer
      - .actual_access:  read_only
        .address_space:  global
        .offset:         32
        .size:           8
        .value_kind:     global_buffer
      - .offset:         40
        .size:           8
        .value_kind:     by_value
      - .address_space:  global
        .offset:         48
        .size:           8
        .value_kind:     global_buffer
      - .address_space:  global
        .offset:         56
        .size:           8
        .value_kind:     global_buffer
      - .address_space:  global
        .offset:         64
        .size:           8
        .value_kind:     global_buffer
      - .address_space:  global
        .offset:         72
        .size:           8
        .value_kind:     global_buffer
      - .offset:         80
        .size:           4
        .value_kind:     by_value
      - .address_space:  global
        .offset:         88
        .size:           8
        .value_kind:     global_buffer
      - .address_space:  global
        .offset:         96
        .size:           8
        .value_kind:     global_buffer
    .group_segment_fixed_size: 29120
    .kernarg_segment_align: 8
    .kernarg_segment_size: 104
    .language:       OpenCL C
    .language_version:
      - 2
      - 0
    .max_flat_workgroup_size: 182
    .name:           bluestein_single_fwd_len1820_dim1_dp_op_CI_CI
    .private_segment_fixed_size: 464
    .sgpr_count:     48
    .sgpr_spill_count: 0
    .symbol:         bluestein_single_fwd_len1820_dim1_dp_op_CI_CI.kd
    .uniform_work_group_size: 1
    .uses_dynamic_stack: false
    .vgpr_count:     256
    .vgpr_spill_count: 164
    .wavefront_size: 32
    .workgroup_processor_mode: 1
amdhsa.target:   amdgcn-amd-amdhsa--gfx1201
amdhsa.version:
  - 1
  - 2
...

	.end_amdgpu_metadata
